;; amdgpu-corpus repo=pytorch/pytorch kind=compiled arch=gfx950 opt=O3
	.amdgcn_target "amdgcn-amd-amdhsa--gfx950"
	.amdhsa_code_object_version 6
	.section	.text._ZN2at6native12_GLOBAL__N_121max_pool_forward_nhwcIdiEEvPKT_iT0_S6_S6_S6_S6_iiiiiiiiS6_S6_S6_S6_iiPS3_Pl,"axG",@progbits,_ZN2at6native12_GLOBAL__N_121max_pool_forward_nhwcIdiEEvPKT_iT0_S6_S6_S6_S6_iiiiiiiiS6_S6_S6_S6_iiPS3_Pl,comdat
	.globl	_ZN2at6native12_GLOBAL__N_121max_pool_forward_nhwcIdiEEvPKT_iT0_S6_S6_S6_S6_iiiiiiiiS6_S6_S6_S6_iiPS3_Pl ; -- Begin function _ZN2at6native12_GLOBAL__N_121max_pool_forward_nhwcIdiEEvPKT_iT0_S6_S6_S6_S6_iiiiiiiiS6_S6_S6_S6_iiPS3_Pl
	.p2align	8
	.type	_ZN2at6native12_GLOBAL__N_121max_pool_forward_nhwcIdiEEvPKT_iT0_S6_S6_S6_S6_iiiiiiiiS6_S6_S6_S6_iiPS3_Pl,@function
_ZN2at6native12_GLOBAL__N_121max_pool_forward_nhwcIdiEEvPKT_iT0_S6_S6_S6_S6_iiiiiiiiS6_S6_S6_S6_iiPS3_Pl: ; @_ZN2at6native12_GLOBAL__N_121max_pool_forward_nhwcIdiEEvPKT_iT0_S6_S6_S6_S6_iiiiiiiiS6_S6_S6_S6_iiPS3_Pl
; %bb.0:
	s_load_dwordx4 s[8:11], s[0:1], 0x6c
	s_load_dwordx4 s[28:31], s[0:1], 0x48
	v_bfe_u32 v4, v0, 10, 10
	v_bfe_u32 v5, v0, 20, 10
	v_and_b32_e32 v8, 0x3ff, v0
	s_waitcnt lgkmcnt(0)
	s_and_b32 s34, s10, 0xffff
	s_lshr_b32 s58, s10, 16
	s_mul_i32 s35, s31, s34
	s_and_b32 s33, s11, 0xffff
	s_mul_i32 s5, s35, s58
	v_mad_u32_u24 v9, v5, s58, v4
	s_mul_i32 s5, s5, s33
	v_mad_u64_u32 v[0:1], s[6:7], v9, s34, v[8:9]
	v_cmp_gt_u32_e32 vcc, s5, v0
	s_and_saveexec_b64 s[6:7], vcc
	s_cbranch_execz .LBB0_3
; %bb.1:
	s_mul_i32 s12, s58, s34
	s_lshl_b32 s10, s5, 2
	s_mul_i32 s12, s12, s33
	s_add_i32 s10, s10, 0
	v_lshl_add_u32 v1, v0, 3, s10
	s_lshl_b32 s13, s12, 3
	v_mov_b32_e32 v2, 0
	v_lshl_add_u32 v6, v0, 2, 0
	s_lshl_b32 s14, s12, 2
	s_mov_b64 s[10:11], 0
	v_mov_b32_e32 v3, 0xfff00000
.LBB0_2:                                ; =>This Inner Loop Header: Depth=1
	v_add_u32_e32 v0, s12, v0
	v_cmp_le_u32_e32 vcc, s5, v0
	ds_write_b64 v1, v[2:3]
	ds_write_b32 v6, v2
	v_add_u32_e32 v1, s13, v1
	s_or_b64 s[10:11], vcc, s[10:11]
	v_add_u32_e32 v6, s14, v6
	s_andn2_b64 exec, exec, s[10:11]
	s_cbranch_execnz .LBB0_2
.LBB0_3:
	s_or_b64 exec, exec, s[6:7]
	v_cvt_f32_u32_e32 v0, s9
	s_load_dwordx16 s[12:27], s[0:1], 0x8
	s_sub_i32 s6, 0, s9
	s_waitcnt lgkmcnt(0)
	v_rcp_iflag_f32_e32 v0, v0
	s_barrier
	s_add_i32 s7, s16, s9
	s_add_i32 s7, s7, -1
	v_mul_f32_e32 v0, 0x4f7ffffe, v0
	v_cvt_u32_f32_e32 v0, v0
	v_cvt_f32_u32_e32 v1, s12
	v_readfirstlane_b32 s10, v0
	s_mul_i32 s6, s6, s10
	s_mul_hi_u32 s11, s10, s6
	v_cvt_f32_u32_e32 v0, s8
	s_add_i32 s10, s10, s11
	s_mul_hi_u32 s10, s7, s10
	s_mul_i32 s11, s10, s9
	s_sub_i32 s7, s7, s11
	v_rcp_iflag_f32_e32 v0, v0
	s_add_i32 s11, s10, 1
	s_sub_i32 s36, s7, s9
	v_rcp_iflag_f32_e32 v1, v1
	s_cmp_ge_u32 s7, s9
	s_cselect_b32 s10, s11, s10
	s_cselect_b32 s7, s36, s7
	v_mul_f32_e32 v0, 0x4f7ffffe, v0
	s_add_i32 s11, s10, 1
	v_cvt_u32_f32_e32 v0, v0
	s_cmp_ge_u32 s7, s9
	v_mul_f32_e32 v1, 0x4f7ffffe, v1
	s_cselect_b32 s9, s11, s10
	v_cvt_u32_f32_e32 v1, v1
	s_mul_i32 s4, s9, s4
	v_add_u32_e32 v3, s4, v5
	v_readfirstlane_b32 s7, v0
	v_add_u32_e32 v0, s9, v3
	v_min_i32_e32 v40, s16, v0
	v_readfirstlane_b32 s6, v1
	v_cmp_lt_i32_e32 vcc, v3, v40
	s_and_saveexec_b64 s[10:11], vcc
	s_cbranch_execz .LBB0_74
; %bb.4:
	s_sub_i32 s4, 0, s12
	s_mul_i32 s4, s4, s6
	s_mul_hi_u32 s4, s6, s4
	s_add_i32 s6, s6, s4
	s_mul_hi_u32 s4, s2, s6
	s_add_i32 s6, s17, s8
	s_add_i32 s9, s6, -1
	s_sub_i32 s6, 0, s8
	s_lshl_b32 s5, s5, 2
	s_mul_i32 s6, s6, s7
	s_add_i32 s41, s5, 0
	s_mul_i32 s5, s4, s12
	s_mul_hi_u32 s6, s7, s6
	s_sub_i32 s5, s2, s5
	s_add_i32 s7, s7, s6
	s_add_i32 s10, s4, 1
	s_sub_i32 s11, s5, s12
	s_cmp_ge_u32 s5, s12
	s_cselect_b32 s4, s10, s4
	s_cselect_b32 s5, s11, s5
	s_add_i32 s10, s4, 1
	s_cmp_ge_u32 s5, s12
	s_cselect_b32 s4, s10, s4
	s_mul_hi_u32 s40, s9, s7
	s_load_dwordx2 s[6:7], s[0:1], 0x0
	s_load_dwordx4 s[36:39], s[0:1], 0x58
	s_mul_i32 s5, s4, s12
	s_mul_i32 s4, s4, s34
	s_sub_i32 s2, s2, s5
	v_add_u32_e32 v0, s4, v8
	s_mul_i32 s4, s16, s13
	s_mul_i32 s4, s4, s17
	;; [unrolled: 1-line block ×4, first 2 shown]
	s_ashr_i32 s11, s10, 31
	s_ashr_i32 s5, s4, 31
	s_lshl_b64 s[10:11], s[10:11], 3
	s_waitcnt lgkmcnt(0)
	s_add_u32 s10, s6, s10
	s_mul_i32 s0, s40, s8
	s_addc_u32 s11, s7, s11
	s_sub_i32 s0, s9, s0
	s_add_i32 s1, s40, 1
	s_sub_i32 s2, s0, s8
	s_cmp_ge_u32 s0, s8
	s_cselect_b32 s1, s1, s40
	s_cselect_b32 s0, s2, s0
	s_add_i32 s2, s1, 1
	s_cmp_ge_u32 s0, s8
	s_cselect_b32 s0, s2, s1
	s_mul_i32 s1, s0, s3
	v_add_u32_e32 v2, s1, v4
	v_add_u32_e32 v4, s0, v2
	s_add_i32 s0, s18, -1
	s_add_i32 s2, s19, -1
	s_mul_i32 s12, s24, s0
	s_mul_i32 s59, s25, s2
	s_add_i32 s12, s12, 1
	s_add_i32 s59, s59, 1
	s_max_i32 s2, s18, s19
	s_cmp_lt_i32 s2, 4
	s_mul_i32 s16, s30, s34
	s_cselect_b64 s[2:3], -1, 0
	s_cmp_le_u32 s13, s16
	s_cselect_b64 s[6:7], -1, 0
	s_max_u32 s60, s24, 1
	v_cvt_f32_u32_e32 v11, s60
	v_mul_lo_u32 v1, s35, v9
	v_min_i32_e32 v41, s17, v4
	v_mul_lo_u32 v4, v0, s27
	v_rcp_iflag_f32_e32 v11, v11
	v_lshlrev_b32_e32 v10, 3, v1
	v_ashrrev_i32_e32 v5, 31, v4
	v_lshlrev_b32_e32 v12, 3, v8
	v_lshl_add_u64 v[6:7], v[4:5], 3, s[10:11]
	v_add3_u32 v5, s41, v10, v12
	v_mul_f32_e32 v10, 0x4f7ffffe, v11
	v_cvt_u32_f32_e32 v10, v10
	v_lshlrev_b32_e32 v1, 2, v1
	s_and_b64 s[18:19], s[2:3], s[6:7]
	v_lshlrev_b32_e32 v8, 2, v8
	s_sub_i32 s6, 0, s60
	v_add3_u32 v42, 0, v1, v8
	v_mul_lo_u32 v1, s6, v10
	v_mul_hi_u32 v1, v10, v1
	v_add_u32_e32 v43, v10, v1
	s_mul_i32 s6, s58, s33
	v_lshlrev_b32_e32 v1, 3, v9
	v_lshl_add_u32 v1, s6, 2, v1
	v_mul_lo_u32 v1, s31, v1
	v_mul_lo_u32 v1, v1, s34
	v_add3_u32 v44, v1, v12, 0
	v_mul_lo_u32 v1, s31, v9
	v_mul_lo_u32 v1, v1, s34
	v_lshlrev_b32_e32 v1, 2, v1
	v_add3_u32 v45, v1, v8, 0
	v_ashrrev_i32_e32 v1, 31, v0
	v_lshlrev_b64 v[8:9], 3, v[0:1]
	v_lshl_add_u64 v[8:9], s[4:5], 3, v[8:9]
	v_mad_u64_u32 v[10:11], s[4:5], s17, v3, v[2:3]
	s_mul_i32 s65, s17, s13
	s_ashr_i32 s17, s16, 31
	v_cmp_lt_i32_e64 s[0:1], v2, v41
	v_cmp_gt_i32_e64 s[2:3], s13, v0
	s_lshl_b32 s61, s25, 1
	s_mul_i32 s62, s16, s27
	s_lshl_b32 s63, s34, 3
	s_lshl_b32 s64, s34, 2
	v_mul_lo_u32 v1, s13, v10
	s_mul_i32 s65, s65, s33
	s_mul_i32 s66, s13, s58
	s_lshl_b64 s[26:27], s[16:17], 3
	s_mov_b64 s[30:31], 0
	v_mov_b32_e32 v52, 0
	v_mov_b32_e32 v10, 0
	;; [unrolled: 1-line block ×3, first 2 shown]
	s_branch .LBB0_6
.LBB0_5:                                ;   in Loop: Header=BB0_6 Depth=1
	s_or_b64 exec, exec, s[34:35]
	v_add_u32_e32 v3, s33, v3
	v_cmp_ge_i32_e32 vcc, v3, v40
	s_or_b64 s[30:31], vcc, s[30:31]
	v_add_u32_e32 v1, s65, v1
	s_andn2_b64 exec, exec, s[30:31]
	s_cbranch_execz .LBB0_74
.LBB0_6:                                ; =>This Loop Header: Depth=1
                                        ;     Child Loop BB0_9 Depth 2
                                        ;       Child Loop BB0_10 Depth 3
                                        ;       Child Loop BB0_63 Depth 3
                                        ;         Child Loop BB0_66 Depth 4
                                        ;           Child Loop BB0_69 Depth 5
                                        ;       Child Loop BB0_73 Depth 3
	s_and_saveexec_b64 s[34:35], s[0:1]
	s_cbranch_execz .LBB0_5
; %bb.7:                                ;   in Loop: Header=BB0_6 Depth=1
	v_mul_lo_u32 v12, v3, s20
	v_subrev_u32_e32 v12, s22, v12
	v_add_u32_e32 v13, s12, v12
	v_min_i32_e32 v46, s14, v13
	s_mov_b64 s[40:41], 0
	v_mov_b32_e32 v14, v1
	v_mov_b32_e32 v47, v2
	s_branch .LBB0_9
.LBB0_8:                                ;   in Loop: Header=BB0_9 Depth=2
	s_or_b64 exec, exec, s[4:5]
	v_add_u32_e32 v47, s58, v47
	v_cmp_ge_i32_e32 vcc, v47, v41
	s_or_b64 s[40:41], vcc, s[40:41]
	v_add_u32_e32 v14, s66, v14
	s_andn2_b64 exec, exec, s[40:41]
	s_cbranch_execz .LBB0_5
.LBB0_9:                                ;   Parent Loop BB0_6 Depth=1
                                        ; =>  This Loop Header: Depth=2
                                        ;       Child Loop BB0_10 Depth 3
                                        ;       Child Loop BB0_63 Depth 3
                                        ;         Child Loop BB0_66 Depth 4
                                        ;           Child Loop BB0_69 Depth 5
                                        ;       Child Loop BB0_73 Depth 3
	v_mul_lo_u32 v13, v47, s21
	v_subrev_u32_e32 v13, s23, v13
	s_mov_b64 s[4:5], 0
	v_mov_b32_e32 v49, v13
.LBB0_10:                               ;   Parent Loop BB0_6 Depth=1
                                        ;     Parent Loop BB0_9 Depth=2
                                        ; =>    This Inner Loop Header: Depth=3
	v_mov_b32_e32 v15, v49
	v_cmp_lt_i32_e32 vcc, -1, v15
	s_or_b64 s[4:5], vcc, s[4:5]
	v_add_u32_e32 v49, s25, v15
	s_andn2_b64 exec, exec, s[4:5]
	s_cbranch_execnz .LBB0_10
; %bb.11:                               ;   in Loop: Header=BB0_9 Depth=2
	s_or_b64 exec, exec, s[4:5]
	v_lshrrev_b32_e32 v17, 31, v12
	v_max_i32_e32 v16, 0, v12
	v_add_u32_e32 v18, v12, v17
	v_sub_u32_e32 v16, v16, v18
	v_mul_hi_u32 v18, v16, v43
	v_mul_lo_u32 v19, v18, s60
	v_sub_u32_e32 v16, v16, v19
	v_add_u32_e32 v19, 1, v18
	v_cmp_le_u32_e32 vcc, s60, v16
	v_add_u32_e32 v13, s59, v13
	v_min_i32_e32 v48, s15, v13
	v_cndmask_b32_e32 v18, v18, v19, vcc
	v_subrev_u32_e32 v19, s60, v16
	v_cndmask_b32_e32 v16, v16, v19, vcc
	v_add_u32_e32 v19, 1, v18
	v_cmp_le_u32_e32 vcc, s60, v16
	s_nop 1
	v_cndmask_b32_e32 v16, v18, v19, vcc
	v_add_u32_e32 v16, v17, v16
	v_mad_u64_u32 v[12:13], s[4:5], s24, v16, v[12:13]
	s_mov_b64 s[4:5], -1
	s_and_b64 vcc, exec, s[18:19]
	v_cmp_lt_i32_e64 s[8:9], v12, v46
	s_cbranch_vccnz .LBB0_14
; %bb.12:                               ;   in Loop: Header=BB0_9 Depth=2
	s_and_b64 vcc, exec, s[4:5]
	s_cbranch_vccnz .LBB0_60
.LBB0_13:                               ;   in Loop: Header=BB0_9 Depth=2
	s_and_saveexec_b64 s[4:5], s[2:3]
	s_cbranch_execz .LBB0_8
	s_branch .LBB0_72
.LBB0_14:                               ;   in Loop: Header=BB0_9 Depth=2
	v_mul_lo_u32 v16, v12, s28
	v_cmp_lt_i32_e32 vcc, v15, v48
	v_ashrrev_i32_e32 v17, 31, v16
	s_and_b64 s[4:5], s[8:9], vcc
	v_mul_lo_u32 v24, v15, s29
	v_lshl_add_u64 v[20:21], v[16:17], 3, v[6:7]
	s_and_b64 s[46:47], s[2:3], s[4:5]
	v_mov_b64_e32 v[16:17], 0
	v_ashrrev_i32_e32 v25, 31, v24
	v_mov_b64_e32 v[28:29], 0
	s_and_saveexec_b64 s[4:5], s[46:47]
	s_cbranch_execz .LBB0_16
; %bb.15:                               ;   in Loop: Header=BB0_9 Depth=2
	v_lshl_add_u64 v[18:19], v[24:25], 3, v[20:21]
	global_load_dwordx2 v[28:29], v[18:19], off
.LBB0_16:                               ;   in Loop: Header=BB0_9 Depth=2
	s_or_b64 exec, exec, s[4:5]
	v_cmp_lt_i32_e64 s[4:5], v49, v48
	s_and_b64 s[6:7], s[8:9], s[4:5]
	v_mul_lo_u32 v34, v49, s29
	s_and_b64 s[48:49], s[2:3], s[6:7]
	v_ashrrev_i32_e32 v35, 31, v34
	s_and_saveexec_b64 s[6:7], s[48:49]
	s_cbranch_execz .LBB0_18
; %bb.17:                               ;   in Loop: Header=BB0_9 Depth=2
	v_lshl_add_u64 v[16:17], v[34:35], 3, v[20:21]
	global_load_dwordx2 v[16:17], v[16:17], off
.LBB0_18:                               ;   in Loop: Header=BB0_9 Depth=2
	s_or_b64 exec, exec, s[6:7]
	v_add_u32_e32 v13, s61, v15
	v_cmp_lt_i32_e64 s[6:7], v13, v48
	s_and_b64 s[8:9], s[8:9], s[6:7]
	v_mul_lo_u32 v36, v13, s29
	s_and_b64 s[50:51], s[2:3], s[8:9]
	v_mov_b64_e32 v[18:19], 0
	v_ashrrev_i32_e32 v37, 31, v36
	v_mov_b64_e32 v[32:33], 0
	s_and_saveexec_b64 s[8:9], s[50:51]
	s_cbranch_execz .LBB0_20
; %bb.19:                               ;   in Loop: Header=BB0_9 Depth=2
	v_lshl_add_u64 v[20:21], v[36:37], 3, v[20:21]
	global_load_dwordx2 v[32:33], v[20:21], off
.LBB0_20:                               ;   in Loop: Header=BB0_9 Depth=2
	s_or_b64 exec, exec, s[8:9]
	v_add_u32_e32 v51, s24, v12
	v_mul_lo_u32 v20, v51, s28
	v_cmp_lt_i32_e64 s[8:9], v51, v46
	v_ashrrev_i32_e32 v21, 31, v20
	s_and_b64 s[42:43], s[8:9], vcc
	v_lshl_add_u64 v[20:21], v[20:21], 3, v[6:7]
	s_and_b64 s[56:57], s[2:3], s[42:43]
	s_and_saveexec_b64 s[42:43], s[56:57]
	s_cbranch_execz .LBB0_22
; %bb.21:                               ;   in Loop: Header=BB0_9 Depth=2
	v_lshl_add_u64 v[18:19], v[24:25], 3, v[20:21]
	global_load_dwordx2 v[18:19], v[18:19], off
.LBB0_22:                               ;   in Loop: Header=BB0_9 Depth=2
	s_or_b64 exec, exec, s[42:43]
	s_and_b64 s[42:43], s[8:9], s[4:5]
	s_and_b64 s[54:55], s[2:3], s[42:43]
	v_mov_b64_e32 v[22:23], 0
	v_mov_b64_e32 v[30:31], 0
	s_and_saveexec_b64 s[42:43], s[54:55]
	s_cbranch_execz .LBB0_24
; %bb.23:                               ;   in Loop: Header=BB0_9 Depth=2
	v_lshl_add_u64 v[26:27], v[34:35], 3, v[20:21]
	global_load_dwordx2 v[30:31], v[26:27], off
.LBB0_24:                               ;   in Loop: Header=BB0_9 Depth=2
	s_or_b64 exec, exec, s[42:43]
	s_and_b64 s[8:9], s[8:9], s[6:7]
	s_and_b64 s[44:45], s[2:3], s[8:9]
	s_and_saveexec_b64 s[8:9], s[44:45]
	s_cbranch_execz .LBB0_26
; %bb.25:                               ;   in Loop: Header=BB0_9 Depth=2
	v_lshl_add_u64 v[20:21], v[36:37], 3, v[20:21]
	global_load_dwordx2 v[22:23], v[20:21], off
.LBB0_26:                               ;   in Loop: Header=BB0_9 Depth=2
	s_or_b64 exec, exec, s[8:9]
	v_add_u32_e32 v50, s24, v51
	v_mul_lo_u32 v20, v50, s28
	v_cmp_lt_i32_e64 s[8:9], v50, v46
	v_ashrrev_i32_e32 v21, 31, v20
	s_and_b64 s[42:43], s[8:9], vcc
	v_lshl_add_u64 v[38:39], v[20:21], 3, v[6:7]
	s_and_b64 s[52:53], s[2:3], s[42:43]
	v_mov_b64_e32 v[20:21], 0
	v_mov_b64_e32 v[26:27], 0
	s_and_saveexec_b64 s[42:43], s[52:53]
	s_cbranch_execz .LBB0_28
; %bb.27:                               ;   in Loop: Header=BB0_9 Depth=2
	v_lshl_add_u64 v[24:25], v[24:25], 3, v[38:39]
	global_load_dwordx2 v[26:27], v[24:25], off
.LBB0_28:                               ;   in Loop: Header=BB0_9 Depth=2
	s_or_b64 exec, exec, s[42:43]
	s_and_b64 s[4:5], s[8:9], s[4:5]
	s_and_b64 s[42:43], s[2:3], s[4:5]
	s_and_saveexec_b64 s[4:5], s[42:43]
	s_cbranch_execz .LBB0_30
; %bb.29:                               ;   in Loop: Header=BB0_9 Depth=2
	v_lshl_add_u64 v[20:21], v[34:35], 3, v[38:39]
	global_load_dwordx2 v[20:21], v[20:21], off
.LBB0_30:                               ;   in Loop: Header=BB0_9 Depth=2
	s_or_b64 exec, exec, s[4:5]
	s_and_b64 s[4:5], s[8:9], s[6:7]
	s_and_b64 s[6:7], s[2:3], s[4:5]
	v_mov_b64_e32 v[24:25], 0
	s_and_saveexec_b64 s[4:5], s[6:7]
	s_cbranch_execz .LBB0_32
; %bb.31:                               ;   in Loop: Header=BB0_9 Depth=2
	v_lshl_add_u64 v[24:25], v[36:37], 3, v[38:39]
	global_load_dwordx2 v[24:25], v[24:25], off
.LBB0_32:                               ;   in Loop: Header=BB0_9 Depth=2
	s_or_b64 exec, exec, s[4:5]
	v_mul_lo_u32 v34, v12, s15
	s_and_saveexec_b64 s[8:9], s[46:47]
	s_cbranch_execz .LBB0_35
; %bb.33:                               ;   in Loop: Header=BB0_9 Depth=2
	ds_read_b64 v[36:37], v5
	s_waitcnt vmcnt(0)
	v_cmp_u_f64_e64 s[4:5], v[28:29], v[28:29]
	s_waitcnt lgkmcnt(0)
	v_cmp_gt_f64_e32 vcc, v[28:29], v[36:37]
	s_or_b64 s[4:5], s[4:5], vcc
	s_and_b64 exec, exec, s[4:5]
	s_cbranch_execz .LBB0_35
; %bb.34:                               ;   in Loop: Header=BB0_9 Depth=2
	v_add_u32_e32 v35, v15, v34
	ds_write_b64 v5, v[28:29]
	ds_write_b32 v42, v35
.LBB0_35:                               ;   in Loop: Header=BB0_9 Depth=2
	s_or_b64 exec, exec, s[8:9]
	s_and_saveexec_b64 s[8:9], s[48:49]
	s_cbranch_execz .LBB0_38
; %bb.36:                               ;   in Loop: Header=BB0_9 Depth=2
	s_waitcnt vmcnt(0)
	ds_read_b64 v[28:29], v5
	v_cmp_u_f64_e64 s[4:5], v[16:17], v[16:17]
	s_waitcnt lgkmcnt(0)
	v_cmp_gt_f64_e32 vcc, v[16:17], v[28:29]
	s_or_b64 s[4:5], s[4:5], vcc
	s_and_b64 exec, exec, s[4:5]
	s_cbranch_execz .LBB0_38
; %bb.37:                               ;   in Loop: Header=BB0_9 Depth=2
	v_add_u32_e32 v28, v49, v34
	ds_write_b64 v5, v[16:17]
	ds_write_b32 v42, v28
.LBB0_38:                               ;   in Loop: Header=BB0_9 Depth=2
	s_or_b64 exec, exec, s[8:9]
	s_and_saveexec_b64 s[8:9], s[50:51]
	s_cbranch_execz .LBB0_41
; %bb.39:                               ;   in Loop: Header=BB0_9 Depth=2
	s_waitcnt vmcnt(0)
	ds_read_b64 v[16:17], v5
	v_cmp_u_f64_e64 s[4:5], v[32:33], v[32:33]
	s_waitcnt lgkmcnt(0)
	v_cmp_gt_f64_e32 vcc, v[32:33], v[16:17]
	s_or_b64 s[4:5], s[4:5], vcc
	s_and_b64 exec, exec, s[4:5]
	s_cbranch_execz .LBB0_41
; %bb.40:                               ;   in Loop: Header=BB0_9 Depth=2
	v_add_u32_e32 v16, v13, v34
	ds_write_b64 v5, v[32:33]
	ds_write_b32 v42, v16
.LBB0_41:                               ;   in Loop: Header=BB0_9 Depth=2
	s_or_b64 exec, exec, s[8:9]
	s_waitcnt vmcnt(0)
	v_mul_lo_u32 v16, v51, s15
	s_and_saveexec_b64 s[8:9], s[56:57]
	s_cbranch_execz .LBB0_44
; %bb.42:                               ;   in Loop: Header=BB0_9 Depth=2
	ds_read_b64 v[28:29], v5
	v_cmp_u_f64_e64 s[4:5], v[18:19], v[18:19]
	s_waitcnt lgkmcnt(0)
	v_cmp_gt_f64_e32 vcc, v[18:19], v[28:29]
	s_or_b64 s[4:5], s[4:5], vcc
	s_and_b64 exec, exec, s[4:5]
	s_cbranch_execz .LBB0_44
; %bb.43:                               ;   in Loop: Header=BB0_9 Depth=2
	v_add_u32_e32 v17, v15, v16
	ds_write_b64 v5, v[18:19]
	ds_write_b32 v42, v17
.LBB0_44:                               ;   in Loop: Header=BB0_9 Depth=2
	s_or_b64 exec, exec, s[8:9]
	s_and_saveexec_b64 s[8:9], s[54:55]
	s_cbranch_execz .LBB0_47
; %bb.45:                               ;   in Loop: Header=BB0_9 Depth=2
	ds_read_b64 v[18:19], v5
	v_cmp_u_f64_e64 s[4:5], v[30:31], v[30:31]
	s_waitcnt lgkmcnt(0)
	v_cmp_gt_f64_e32 vcc, v[30:31], v[18:19]
	s_or_b64 s[4:5], s[4:5], vcc
	s_and_b64 exec, exec, s[4:5]
	s_cbranch_execz .LBB0_47
; %bb.46:                               ;   in Loop: Header=BB0_9 Depth=2
	v_add_u32_e32 v17, v49, v16
	ds_write_b64 v5, v[30:31]
	ds_write_b32 v42, v17
.LBB0_47:                               ;   in Loop: Header=BB0_9 Depth=2
	s_or_b64 exec, exec, s[8:9]
	;; [unrolled: 16-line block ×3, first 2 shown]
	v_mul_lo_u32 v16, v50, s15
	s_and_saveexec_b64 s[8:9], s[52:53]
	s_cbranch_execz .LBB0_53
; %bb.51:                               ;   in Loop: Header=BB0_9 Depth=2
	ds_read_b64 v[18:19], v5
	v_cmp_u_f64_e64 s[4:5], v[26:27], v[26:27]
	s_waitcnt lgkmcnt(0)
	v_cmp_gt_f64_e32 vcc, v[26:27], v[18:19]
	s_or_b64 s[4:5], s[4:5], vcc
	s_and_b64 exec, exec, s[4:5]
	s_cbranch_execz .LBB0_53
; %bb.52:                               ;   in Loop: Header=BB0_9 Depth=2
	v_add_u32_e32 v17, v15, v16
	ds_write_b64 v5, v[26:27]
	ds_write_b32 v42, v17
.LBB0_53:                               ;   in Loop: Header=BB0_9 Depth=2
	s_or_b64 exec, exec, s[8:9]
	s_and_saveexec_b64 s[8:9], s[42:43]
	s_cbranch_execz .LBB0_56
; %bb.54:                               ;   in Loop: Header=BB0_9 Depth=2
	ds_read_b64 v[18:19], v5
	v_cmp_u_f64_e64 s[4:5], v[20:21], v[20:21]
	s_waitcnt lgkmcnt(0)
	v_cmp_gt_f64_e32 vcc, v[20:21], v[18:19]
	s_or_b64 s[4:5], s[4:5], vcc
	s_and_b64 exec, exec, s[4:5]
	s_cbranch_execz .LBB0_56
; %bb.55:                               ;   in Loop: Header=BB0_9 Depth=2
	v_add_u32_e32 v17, v49, v16
	ds_write_b64 v5, v[20:21]
	ds_write_b32 v42, v17
.LBB0_56:                               ;   in Loop: Header=BB0_9 Depth=2
	s_or_b64 exec, exec, s[8:9]
	;; [unrolled: 16-line block ×3, first 2 shown]
	s_branch .LBB0_13
.LBB0_60:                               ;   in Loop: Header=BB0_9 Depth=2
	v_cmp_lt_i32_e32 vcc, v12, v46
	s_and_saveexec_b64 s[8:9], vcc
	s_cbranch_execz .LBB0_71
; %bb.61:                               ;   in Loop: Header=BB0_9 Depth=2
	v_cmp_lt_i32_e32 vcc, v15, v48
	s_mov_b64 s[42:43], 0
	v_mov_b32_e32 v13, v12
	s_branch .LBB0_63
.LBB0_62:                               ;   in Loop: Header=BB0_63 Depth=3
	s_or_b64 exec, exec, s[44:45]
	v_add_u32_e32 v13, s24, v13
	v_cmp_ge_i32_e64 s[4:5], v13, v46
	s_or_b64 s[42:43], s[4:5], s[42:43]
	s_andn2_b64 exec, exec, s[42:43]
	s_cbranch_execz .LBB0_71
.LBB0_63:                               ;   Parent Loop BB0_6 Depth=1
                                        ;     Parent Loop BB0_9 Depth=2
                                        ; =>    This Loop Header: Depth=3
                                        ;         Child Loop BB0_66 Depth 4
                                        ;           Child Loop BB0_69 Depth 5
	s_and_saveexec_b64 s[44:45], vcc
	s_cbranch_execz .LBB0_62
; %bb.64:                               ;   in Loop: Header=BB0_63 Depth=3
	v_mul_lo_u32 v16, v13, s28
	v_ashrrev_i32_e32 v17, 31, v16
	v_lshl_add_u64 v[16:17], v[16:17], 3, s[10:11]
	v_mul_lo_u32 v24, v13, s15
	s_mov_b64 s[46:47], 0
	v_mov_b32_e32 v25, v15
	s_branch .LBB0_66
.LBB0_65:                               ;   in Loop: Header=BB0_66 Depth=4
	s_or_b64 exec, exec, s[48:49]
	v_add_u32_e32 v25, s25, v25
	v_cmp_ge_i32_e64 s[4:5], v25, v48
	s_or_b64 s[46:47], s[4:5], s[46:47]
	s_andn2_b64 exec, exec, s[46:47]
	s_cbranch_execz .LBB0_62
.LBB0_66:                               ;   Parent Loop BB0_6 Depth=1
                                        ;     Parent Loop BB0_9 Depth=2
                                        ;       Parent Loop BB0_63 Depth=3
                                        ; =>      This Loop Header: Depth=4
                                        ;           Child Loop BB0_69 Depth 5
	s_and_saveexec_b64 s[48:49], s[2:3]
	s_cbranch_execz .LBB0_65
; %bb.67:                               ;   in Loop: Header=BB0_66 Depth=4
	v_mul_lo_u32 v18, v25, s29
	v_ashrrev_i32_e32 v19, 31, v18
	v_lshl_add_u64 v[18:19], v[18:19], 3, v[16:17]
	v_add_u32_e32 v26, v25, v24
	s_mov_b64 s[50:51], 0
	v_mov_b32_e32 v27, v45
	v_mov_b32_e32 v28, v44
	;; [unrolled: 1-line block ×4, first 2 shown]
	s_branch .LBB0_69
.LBB0_68:                               ;   in Loop: Header=BB0_69 Depth=5
	s_or_b64 exec, exec, s[4:5]
	v_add_u32_e32 v29, s16, v29
	v_cmp_le_i32_e64 s[4:5], s13, v29
	v_add_u32_e32 v20, s62, v20
	v_add_u32_e32 v28, s63, v28
	s_or_b64 s[50:51], s[4:5], s[50:51]
	v_add_u32_e32 v27, s64, v27
	s_andn2_b64 exec, exec, s[50:51]
	s_cbranch_execz .LBB0_65
.LBB0_69:                               ;   Parent Loop BB0_6 Depth=1
                                        ;     Parent Loop BB0_9 Depth=2
                                        ;       Parent Loop BB0_63 Depth=3
                                        ;         Parent Loop BB0_66 Depth=4
                                        ; =>        This Inner Loop Header: Depth=5
	v_ashrrev_i32_e32 v21, 31, v20
	v_lshl_add_u64 v[22:23], v[20:21], 3, v[18:19]
	global_load_dwordx2 v[22:23], v[22:23], off
	ds_read_b64 v[30:31], v28
	s_waitcnt vmcnt(0) lgkmcnt(0)
	v_cmp_gt_f64_e64 s[4:5], v[22:23], v[30:31]
	v_cmp_u_f64_e64 s[6:7], v[22:23], v[22:23]
	s_or_b64 s[6:7], s[6:7], s[4:5]
	s_and_saveexec_b64 s[4:5], s[6:7]
	s_cbranch_execz .LBB0_68
; %bb.70:                               ;   in Loop: Header=BB0_69 Depth=5
	ds_write_b64 v28, v[22:23]
	ds_write_b32 v27, v26
	s_branch .LBB0_68
.LBB0_71:                               ;   in Loop: Header=BB0_9 Depth=2
	s_or_b64 exec, exec, s[8:9]
	s_and_saveexec_b64 s[4:5], s[2:3]
	s_cbranch_execz .LBB0_8
.LBB0_72:                               ;   in Loop: Header=BB0_9 Depth=2
	v_ashrrev_i32_e32 v15, 31, v14
	v_lshl_add_u64 v[16:17], v[14:15], 3, v[8:9]
	s_mov_b64 s[6:7], 0
	v_mov_b32_e32 v13, v45
	v_mov_b32_e32 v15, v44
	;; [unrolled: 1-line block ×3, first 2 shown]
.LBB0_73:                               ;   Parent Loop BB0_6 Depth=1
                                        ;     Parent Loop BB0_9 Depth=2
                                        ; =>    This Inner Loop Header: Depth=3
	ds_read_b32 v24, v13
	ds_read_b64 v[20:21], v15
	v_add_u32_e32 v18, s16, v18
	v_cmp_le_i32_e32 vcc, s13, v18
	v_lshl_add_u64 v[22:23], s[36:37], 0, v[16:17]
	v_lshl_add_u64 v[26:27], s[38:39], 0, v[16:17]
	ds_write_b64 v15, v[10:11]
	ds_write_b32 v13, v52
	v_lshl_add_u64 v[16:17], v[16:17], 0, s[26:27]
	v_add_u32_e32 v15, s63, v15
	v_add_u32_e32 v13, s64, v13
	s_or_b64 s[6:7], vcc, s[6:7]
	s_waitcnt lgkmcnt(3)
	v_ashrrev_i32_e32 v25, 31, v24
	s_waitcnt lgkmcnt(2)
	global_store_dwordx2 v[22:23], v[20:21], off
	global_store_dwordx2 v[26:27], v[24:25], off
	s_andn2_b64 exec, exec, s[6:7]
	s_cbranch_execnz .LBB0_73
	s_branch .LBB0_8
.LBB0_74:
	s_endpgm
	.section	.rodata,"a",@progbits
	.p2align	6, 0x0
	.amdhsa_kernel _ZN2at6native12_GLOBAL__N_121max_pool_forward_nhwcIdiEEvPKT_iT0_S6_S6_S6_S6_iiiiiiiiS6_S6_S6_S6_iiPS3_Pl
		.amdhsa_group_segment_fixed_size 0
		.amdhsa_private_segment_fixed_size 0
		.amdhsa_kernarg_size 360
		.amdhsa_user_sgpr_count 2
		.amdhsa_user_sgpr_dispatch_ptr 0
		.amdhsa_user_sgpr_queue_ptr 0
		.amdhsa_user_sgpr_kernarg_segment_ptr 1
		.amdhsa_user_sgpr_dispatch_id 0
		.amdhsa_user_sgpr_kernarg_preload_length 0
		.amdhsa_user_sgpr_kernarg_preload_offset 0
		.amdhsa_user_sgpr_private_segment_size 0
		.amdhsa_uses_dynamic_stack 0
		.amdhsa_enable_private_segment 0
		.amdhsa_system_sgpr_workgroup_id_x 1
		.amdhsa_system_sgpr_workgroup_id_y 1
		.amdhsa_system_sgpr_workgroup_id_z 1
		.amdhsa_system_sgpr_workgroup_info 0
		.amdhsa_system_vgpr_workitem_id 2
		.amdhsa_next_free_vgpr 53
		.amdhsa_next_free_sgpr 67
		.amdhsa_accum_offset 56
		.amdhsa_reserve_vcc 1
		.amdhsa_float_round_mode_32 0
		.amdhsa_float_round_mode_16_64 0
		.amdhsa_float_denorm_mode_32 3
		.amdhsa_float_denorm_mode_16_64 3
		.amdhsa_dx10_clamp 1
		.amdhsa_ieee_mode 1
		.amdhsa_fp16_overflow 0
		.amdhsa_tg_split 0
		.amdhsa_exception_fp_ieee_invalid_op 0
		.amdhsa_exception_fp_denorm_src 0
		.amdhsa_exception_fp_ieee_div_zero 0
		.amdhsa_exception_fp_ieee_overflow 0
		.amdhsa_exception_fp_ieee_underflow 0
		.amdhsa_exception_fp_ieee_inexact 0
		.amdhsa_exception_int_div_zero 0
	.end_amdhsa_kernel
	.section	.text._ZN2at6native12_GLOBAL__N_121max_pool_forward_nhwcIdiEEvPKT_iT0_S6_S6_S6_S6_iiiiiiiiS6_S6_S6_S6_iiPS3_Pl,"axG",@progbits,_ZN2at6native12_GLOBAL__N_121max_pool_forward_nhwcIdiEEvPKT_iT0_S6_S6_S6_S6_iiiiiiiiS6_S6_S6_S6_iiPS3_Pl,comdat
.Lfunc_end0:
	.size	_ZN2at6native12_GLOBAL__N_121max_pool_forward_nhwcIdiEEvPKT_iT0_S6_S6_S6_S6_iiiiiiiiS6_S6_S6_S6_iiPS3_Pl, .Lfunc_end0-_ZN2at6native12_GLOBAL__N_121max_pool_forward_nhwcIdiEEvPKT_iT0_S6_S6_S6_S6_iiiiiiiiS6_S6_S6_S6_iiPS3_Pl
                                        ; -- End function
	.set _ZN2at6native12_GLOBAL__N_121max_pool_forward_nhwcIdiEEvPKT_iT0_S6_S6_S6_S6_iiiiiiiiS6_S6_S6_S6_iiPS3_Pl.num_vgpr, 53
	.set _ZN2at6native12_GLOBAL__N_121max_pool_forward_nhwcIdiEEvPKT_iT0_S6_S6_S6_S6_iiiiiiiiS6_S6_S6_S6_iiPS3_Pl.num_agpr, 0
	.set _ZN2at6native12_GLOBAL__N_121max_pool_forward_nhwcIdiEEvPKT_iT0_S6_S6_S6_S6_iiiiiiiiS6_S6_S6_S6_iiPS3_Pl.numbered_sgpr, 67
	.set _ZN2at6native12_GLOBAL__N_121max_pool_forward_nhwcIdiEEvPKT_iT0_S6_S6_S6_S6_iiiiiiiiS6_S6_S6_S6_iiPS3_Pl.num_named_barrier, 0
	.set _ZN2at6native12_GLOBAL__N_121max_pool_forward_nhwcIdiEEvPKT_iT0_S6_S6_S6_S6_iiiiiiiiS6_S6_S6_S6_iiPS3_Pl.private_seg_size, 0
	.set _ZN2at6native12_GLOBAL__N_121max_pool_forward_nhwcIdiEEvPKT_iT0_S6_S6_S6_S6_iiiiiiiiS6_S6_S6_S6_iiPS3_Pl.uses_vcc, 1
	.set _ZN2at6native12_GLOBAL__N_121max_pool_forward_nhwcIdiEEvPKT_iT0_S6_S6_S6_S6_iiiiiiiiS6_S6_S6_S6_iiPS3_Pl.uses_flat_scratch, 0
	.set _ZN2at6native12_GLOBAL__N_121max_pool_forward_nhwcIdiEEvPKT_iT0_S6_S6_S6_S6_iiiiiiiiS6_S6_S6_S6_iiPS3_Pl.has_dyn_sized_stack, 0
	.set _ZN2at6native12_GLOBAL__N_121max_pool_forward_nhwcIdiEEvPKT_iT0_S6_S6_S6_S6_iiiiiiiiS6_S6_S6_S6_iiPS3_Pl.has_recursion, 0
	.set _ZN2at6native12_GLOBAL__N_121max_pool_forward_nhwcIdiEEvPKT_iT0_S6_S6_S6_S6_iiiiiiiiS6_S6_S6_S6_iiPS3_Pl.has_indirect_call, 0
	.section	.AMDGPU.csdata,"",@progbits
; Kernel info:
; codeLenInByte = 2864
; TotalNumSgprs: 73
; NumVgprs: 53
; NumAgprs: 0
; TotalNumVgprs: 53
; ScratchSize: 0
; MemoryBound: 0
; FloatMode: 240
; IeeeMode: 1
; LDSByteSize: 0 bytes/workgroup (compile time only)
; SGPRBlocks: 9
; VGPRBlocks: 6
; NumSGPRsForWavesPerEU: 73
; NumVGPRsForWavesPerEU: 53
; AccumOffset: 56
; Occupancy: 8
; WaveLimiterHint : 1
; COMPUTE_PGM_RSRC2:SCRATCH_EN: 0
; COMPUTE_PGM_RSRC2:USER_SGPR: 2
; COMPUTE_PGM_RSRC2:TRAP_HANDLER: 0
; COMPUTE_PGM_RSRC2:TGID_X_EN: 1
; COMPUTE_PGM_RSRC2:TGID_Y_EN: 1
; COMPUTE_PGM_RSRC2:TGID_Z_EN: 1
; COMPUTE_PGM_RSRC2:TIDIG_COMP_CNT: 2
; COMPUTE_PGM_RSRC3_GFX90A:ACCUM_OFFSET: 13
; COMPUTE_PGM_RSRC3_GFX90A:TG_SPLIT: 0
	.section	.text._ZN2at6native12_GLOBAL__N_121max_pool_forward_nhwcIdlEEvPKT_iT0_S6_S6_S6_S6_iiiiiiiiS6_S6_S6_S6_iiPS3_Pl,"axG",@progbits,_ZN2at6native12_GLOBAL__N_121max_pool_forward_nhwcIdlEEvPKT_iT0_S6_S6_S6_S6_iiiiiiiiS6_S6_S6_S6_iiPS3_Pl,comdat
	.globl	_ZN2at6native12_GLOBAL__N_121max_pool_forward_nhwcIdlEEvPKT_iT0_S6_S6_S6_S6_iiiiiiiiS6_S6_S6_S6_iiPS3_Pl ; -- Begin function _ZN2at6native12_GLOBAL__N_121max_pool_forward_nhwcIdlEEvPKT_iT0_S6_S6_S6_S6_iiiiiiiiS6_S6_S6_S6_iiPS3_Pl
	.p2align	8
	.type	_ZN2at6native12_GLOBAL__N_121max_pool_forward_nhwcIdlEEvPKT_iT0_S6_S6_S6_S6_iiiiiiiiS6_S6_S6_S6_iiPS3_Pl,@function
_ZN2at6native12_GLOBAL__N_121max_pool_forward_nhwcIdlEEvPKT_iT0_S6_S6_S6_S6_iiiiiiiiS6_S6_S6_S6_iiPS3_Pl: ; @_ZN2at6native12_GLOBAL__N_121max_pool_forward_nhwcIdlEEvPKT_iT0_S6_S6_S6_S6_iiiiiiiiS6_S6_S6_S6_iiPS3_Pl
; %bb.0:
	s_load_dwordx4 s[8:11], s[0:1], 0x94
	s_load_dwordx2 s[6:7], s[0:1], 0x78
	v_bfe_u32 v4, v0, 10, 10
	v_bfe_u32 v5, v0, 20, 10
	v_and_b32_e32 v8, 0x3ff, v0
	s_waitcnt lgkmcnt(0)
	s_and_b32 s14, s10, 0xffff
	s_lshr_b32 s72, s10, 16
	s_mul_i32 s5, s7, s14
	s_and_b32 s33, s11, 0xffff
	s_mul_i32 s15, s5, s72
	v_mad_u32_u24 v9, v5, s72, v4
	s_mul_i32 s15, s15, s33
	v_mad_u64_u32 v[0:1], s[10:11], v9, s14, v[8:9]
	v_cmp_gt_u32_e32 vcc, s15, v0
	s_and_saveexec_b64 s[10:11], vcc
	s_cbranch_execz .LBB1_3
; %bb.1:
	s_mul_i32 s16, s72, s14
	s_mul_i32 s16, s16, s33
	v_mov_b32_e32 v2, 0
	s_lshl_b32 s17, s15, 3
	v_lshl_add_u32 v1, v0, 3, 0
	s_lshl_b32 s18, s16, 3
	s_mov_b64 s[12:13], 0
	v_mov_b32_e32 v3, 0xfff00000
	v_mov_b32_e32 v6, v2
	v_mov_b32_e32 v7, v2
.LBB1_2:                                ; =>This Inner Loop Header: Depth=1
	v_add_u32_e32 v0, s16, v0
	v_cmp_le_u32_e32 vcc, s15, v0
	v_add_u32_e32 v10, s17, v1
	ds_write_b64 v1, v[6:7]
	v_add_u32_e32 v1, s18, v1
	s_or_b64 s[12:13], vcc, s[12:13]
	ds_write_b64 v10, v[2:3]
	s_andn2_b64 exec, exec, s[12:13]
	s_cbranch_execnz .LBB1_2
.LBB1_3:
	s_or_b64 exec, exec, s[10:11]
	v_cvt_f32_u32_e32 v0, s9
	s_load_dword s10, s[0:1], 0x8
	s_load_dwordx8 s[20:27], s[0:1], 0x10
	s_sub_i32 s11, 0, s9
	s_waitcnt lgkmcnt(0)
	v_rcp_iflag_f32_e32 v0, v0
	v_cvt_f32_u32_e32 v1, s10
	s_add_i32 s12, s26, s9
	s_add_i32 s12, s12, -1
	v_mul_f32_e32 v0, 0x4f7ffffe, v0
	v_cvt_u32_f32_e32 v0, v0
	v_rcp_iflag_f32_e32 v1, v1
	s_barrier
	v_readfirstlane_b32 s13, v0
	s_mul_i32 s16, s11, s13
	s_mul_hi_u32 s16, s13, s16
	v_cvt_f32_u32_e32 v0, s8
	s_add_i32 s13, s13, s16
	s_mul_hi_u32 s13, s12, s13
	s_mul_i32 s16, s13, s9
	s_sub_i32 s12, s12, s16
	v_rcp_iflag_f32_e32 v0, v0
	s_add_i32 s16, s13, 1
	s_sub_i32 s17, s12, s9
	s_cmp_ge_u32 s12, s9
	s_cselect_b32 s13, s16, s13
	s_cselect_b32 s12, s17, s12
	v_mul_f32_e32 v0, 0x4f7ffffe, v0
	s_add_i32 s16, s13, 1
	v_cvt_u32_f32_e32 v0, v0
	s_cmp_ge_u32 s12, s9
	v_mul_f32_e32 v1, 0x4f7ffffe, v1
	s_cselect_b32 s12, s16, s13
	v_cvt_u32_f32_e32 v1, v1
	s_mul_i32 s4, s12, s4
	v_add_u32_e32 v56, s4, v5
	v_readfirstlane_b32 s9, v0
	v_add_u32_e32 v0, s12, v56
	v_min_i32_e32 v57, s26, v0
	v_readfirstlane_b32 s11, v1
	v_cmp_lt_i32_e32 vcc, v56, v57
	s_and_saveexec_b64 s[12:13], vcc
	s_cbranch_execz .LBB1_78
; %bb.4:
	s_load_dwordx2 s[18:19], s[0:1], 0x30
	s_load_dwordx2 s[12:13], s[0:1], 0x0
	s_sub_i32 s4, 0, s10
	s_mul_i32 s4, s4, s11
	s_mul_hi_u32 s4, s11, s4
	s_add_i32 s11, s11, s4
	s_mul_hi_u32 s4, s2, s11
	s_waitcnt lgkmcnt(0)
	s_add_i32 s11, s18, s8
	s_add_i32 s16, s11, -1
	s_sub_i32 s11, 0, s8
	s_mul_i32 s11, s11, s9
	s_mul_hi_u32 s11, s9, s11
	s_add_i32 s9, s9, s11
	s_lshl_b32 s11, s15, 3
	s_add_i32 s15, s11, 0
	s_mul_i32 s11, s4, s10
	s_sub_i32 s11, s2, s11
	s_add_i32 s17, s4, 1
	s_sub_i32 s28, s11, s10
	s_cmp_ge_u32 s11, s10
	s_cselect_b32 s4, s17, s4
	s_cselect_b32 s11, s28, s11
	s_add_i32 s17, s4, 1
	s_load_dwordx8 s[36:43], s[0:1], 0x58
	s_cmp_ge_u32 s11, s10
	s_cselect_b32 s4, s17, s4
	s_mul_i32 s10, s4, s10
	s_sub_i32 s17, s2, s10
	s_ashr_i32 s62, s17, 31
	s_waitcnt lgkmcnt(0)
	s_mul_i32 s2, s36, s62
	s_mul_hi_u32 s10, s36, s17
	s_add_i32 s2, s10, s2
	s_mul_i32 s10, s37, s17
	s_add_i32 s11, s2, s10
	s_mul_i32 s10, s36, s17
	s_mul_hi_u32 s9, s16, s9
	s_lshl_b64 s[10:11], s[10:11], 3
	s_add_u32 s34, s12, s10
	s_mul_i32 s2, s9, s8
	s_addc_u32 s35, s13, s11
	s_sub_i32 s2, s16, s2
	v_mul_lo_u32 v0, s5, v9
	s_add_i32 s5, s9, 1
	s_sub_i32 s10, s2, s8
	s_cmp_ge_u32 s2, s8
	s_cselect_b32 s5, s5, s9
	s_load_dwordx8 s[44:51], s[0:1], 0x38
	s_cselect_b32 s2, s10, s2
	s_add_i32 s9, s5, 1
	s_cmp_ge_u32 s2, s8
	s_cselect_b32 s2, s9, s5
	s_mul_i32 s3, s2, s3
	v_add_u32_e32 v58, s3, v4
	v_lshlrev_b32_e32 v10, 3, v0
	v_add_u32_e32 v0, s2, v58
	s_load_dwordx4 s[28:31], s[0:1], 0x80
	s_waitcnt lgkmcnt(0)
	s_add_i32 s0, s44, -1
	s_add_i32 s2, s45, -1
	s_mul_i32 s0, s50, s0
	s_mul_i32 s2, s51, s2
	s_add_i32 s36, s0, 1
	s_add_i32 s52, s2, 1
	s_ashr_i32 s73, s48, 31
	s_ashr_i32 s37, s36, 31
	s_ashr_i32 s75, s49, 31
	s_ashr_i32 s53, s52, 31
	s_ashr_i32 s55, s50, 31
	s_ashr_i32 s57, s51, 31
	s_max_i32 s2, s44, s45
	s_mul_i32 s44, s6, s14
	s_cmp_lt_i32 s2, 4
	v_mov_b32_e32 v2, s44
	v_mov_b32_e32 v3, 0
	s_mov_b32 s54, s50
	s_cselect_b64 s[2:3], -1, 0
	v_cmp_le_i64_e32 vcc, s[20:21], v[2:3]
	s_and_b64 s[58:59], s[2:3], vcc
	s_ashr_i32 s10, s6, 31
	v_cmp_gt_u64_e64 s[8:9], s[54:55], 1
	s_and_b64 s[8:9], s[8:9], exec
	s_mul_i32 s4, s4, s14
	s_cselect_b32 s77, s55, 0
	s_cselect_b32 s78, s50, 1
	s_add_u32 s8, s49, s51
	v_min_i32_e32 v59, s18, v0
	v_add_u32_e32 v0, s4, v8
	s_addc_u32 s9, s75, s57
	v_ashrrev_i32_e32 v1, 31, v0
	s_sub_u32 s60, 0, s8
	v_mul_lo_u32 v2, s38, v1
	v_mul_lo_u32 v6, s39, v0
	v_mad_u64_u32 v[4:5], s[4:5], s38, v0, 0
	s_subb_u32 s61, 0, s9
	s_mul_hi_u32 s8, s38, s6
	s_mul_i32 s9, s38, s10
	v_add3_u32 v5, v5, v2, v6
	s_mul_hi_i32 s45, s14, s6
	v_lshlrev_b32_e32 v2, 3, v8
	s_add_i32 s8, s8, s9
	s_mul_i32 s9, s39, s6
	s_mul_i32 s6, s38, s6
	v_add3_u32 v60, s15, v10, v2
	v_add_u32_e32 v61, 0, v2
	s_add_i32 s8, s8, s9
	s_mul_hi_u32 s9, s6, s14
	s_mul_i32 s38, s6, s14
	s_mul_i32 s6, s72, s33
	v_lshlrev_b32_e32 v2, 3, v9
	v_lshl_add_u32 v2, s6, 3, v2
	v_mul_lo_u32 v2, s7, v2
	v_mul_lo_u32 v63, v2, s14
	;; [unrolled: 1-line block ×4, first 2 shown]
	v_add_u32_e32 v62, v61, v10
	v_lshlrev_b32_e32 v64, 3, v2
	v_cvt_f32_u32_e32 v2, s78
	v_cvt_f32_u32_e32 v10, s77
	s_mul_i32 s8, s8, s14
	s_mul_i32 s6, s18, s27
	s_mul_hi_u32 s7, s18, s26
	v_fmac_f32_e32 v2, 0x4f800000, v10
	v_rcp_f32_e32 v2, v2
	s_add_i32 s39, s9, s8
	s_add_i32 s6, s7, s6
	s_mul_i32 s7, s19, s26
	v_mul_f32_e32 v2, 0x5f7ffffc, v2
	v_mul_f32_e32 v10, 0x2f800000, v2
	v_trunc_f32_e32 v65, v10
	s_mul_i32 s8, s18, s26
	v_fmac_f32_e32 v2, 0xcf800000, v65
	s_add_i32 s6, s6, s7
	s_mul_i32 s7, s8, s62
	s_mul_hi_u32 s9, s8, s17
	v_cvt_u32_f32_e32 v66, v2
	s_add_i32 s7, s9, s7
	s_mul_i32 s6, s6, s17
	s_add_i32 s7, s7, s6
	s_mul_i32 s6, s8, s17
	s_mov_b32 s74, s48
	v_cmp_lt_i32_e64 s[0:1], v58, v59
	s_mov_b32 s76, s49
	s_mov_b32 s56, s51
	v_cmp_le_i64_e64 s[2:3], s[20:21], v[0:1]
	v_lshl_add_u64 v[6:7], v[4:5], 3, s[34:35]
	v_cmp_gt_i64_e64 s[4:5], s[20:21], v[0:1]
	s_mov_b64 s[48:49], 0
	s_lshl_b32 s79, s14, 3
	v_lshlrev_b64 v[8:9], 3, v[0:1]
	s_lshl_b64 s[26:27], s[6:7], 3
	s_lshl_b64 s[62:63], s[44:45], 3
	v_mov_b32_e32 v11, 0xfff00000
	v_mov_b32_e32 v10, v3
	;; [unrolled: 1-line block ×4, first 2 shown]
	s_branch .LBB1_6
.LBB1_5:                                ;   in Loop: Header=BB1_6 Depth=1
	s_or_b64 exec, exec, s[64:65]
	v_add_u32_e32 v56, s33, v56
	v_cmp_ge_i32_e32 vcc, v56, v57
	s_or_b64 s[48:49], vcc, s[48:49]
	s_andn2_b64 exec, exec, s[48:49]
	s_cbranch_execz .LBB1_78
.LBB1_6:                                ; =>This Loop Header: Depth=1
                                        ;     Child Loop BB1_9 Depth 2
                                        ;       Child Loop BB1_14 Depth 3
                                        ;       Child Loop BB1_67 Depth 3
                                        ;         Child Loop BB1_70 Depth 4
                                        ;           Child Loop BB1_73 Depth 5
                                        ;       Child Loop BB1_77 Depth 3
	s_and_saveexec_b64 s[64:65], s[0:1]
	s_cbranch_execz .LBB1_5
; %bb.7:                                ;   in Loop: Header=BB1_6 Depth=1
	v_ashrrev_i32_e32 v2, 31, v56
	v_mul_lo_u32 v14, s19, v56
	v_mul_lo_u32 v2, s18, v2
	v_mad_u64_u32 v[12:13], s[6:7], s18, v56, 0
	v_add3_u32 v13, v13, v2, v14
	v_mad_i64_i32 v[14:15], s[6:7], v56, s46, 0
	v_mov_b32_e32 v2, s73
	v_subrev_co_u32_e32 v14, vcc, s74, v14
	s_mov_b64 s[66:67], 0
	s_nop 0
	v_subb_co_u32_e32 v15, vcc, v15, v2, vcc
	v_lshl_add_u64 v[16:17], v[14:15], 0, s[36:37]
	v_mov_b32_e32 v2, s23
	v_cmp_gt_i64_e32 vcc, s[22:23], v[16:17]
	v_mov_b32_e32 v18, v58
	s_nop 0
	v_cndmask_b32_e32 v17, v2, v17, vcc
	v_mov_b32_e32 v2, s22
	v_cndmask_b32_e32 v16, v2, v16, vcc
	s_branch .LBB1_9
.LBB1_8:                                ;   in Loop: Header=BB1_9 Depth=2
	s_or_b64 exec, exec, s[6:7]
	v_add_u32_e32 v18, s72, v18
	v_cmp_ge_i32_e32 vcc, v18, v59
	s_or_b64 s[66:67], vcc, s[66:67]
	s_andn2_b64 exec, exec, s[66:67]
	s_cbranch_execz .LBB1_5
.LBB1_9:                                ;   Parent Loop BB1_6 Depth=1
                                        ; =>  This Loop Header: Depth=2
                                        ;       Child Loop BB1_14 Depth 3
                                        ;       Child Loop BB1_67 Depth 3
                                        ;         Child Loop BB1_70 Depth 4
                                        ;           Child Loop BB1_73 Depth 5
                                        ;       Child Loop BB1_77 Depth 3
	v_cmp_lt_i64_e32 vcc, 0, v[14:15]
	v_lshrrev_b32_e32 v2, 31, v15
	v_lshl_add_u64 v[20:21], v[14:15], 0, v[2:3]
	v_cndmask_b32_e32 v19, 0, v14, vcc
	v_cndmask_b32_e32 v22, 0, v15, vcc
	v_sub_co_u32_e32 v19, vcc, v19, v20
	s_nop 1
	v_subb_co_u32_e32 v20, vcc, v22, v21, vcc
	v_or_b32_e32 v23, s77, v20
	v_mov_b32_e32 v22, v3
	v_cmp_ne_u64_e32 vcc, 0, v[22:23]
                                        ; implicit-def: $vgpr22_vgpr23
	s_and_saveexec_b64 s[6:7], vcc
	s_xor_b64 s[8:9], exec, s[6:7]
	s_cbranch_execz .LBB1_11
; %bb.10:                               ;   in Loop: Header=BB1_9 Depth=2
	v_cvt_u32_f32_e32 v21, v65
	s_sub_u32 s10, 0, s78
	v_readfirstlane_b32 s6, v66
	s_subb_u32 s11, 0, s77
	v_readfirstlane_b32 s13, v21
	s_mul_hi_u32 s12, s10, s6
	s_mul_i32 s14, s10, s13
	s_mul_i32 s7, s11, s6
	s_add_i32 s12, s12, s14
	s_add_i32 s12, s12, s7
	s_mul_i32 s15, s10, s6
	s_mul_i32 s14, s6, s12
	s_mul_hi_u32 s16, s6, s15
	s_mul_hi_u32 s7, s6, s12
	s_add_u32 s14, s16, s14
	s_addc_u32 s7, 0, s7
	s_mul_hi_u32 s17, s13, s15
	s_mul_i32 s15, s13, s15
	s_add_u32 s14, s14, s15
	s_mul_hi_u32 s16, s13, s12
	s_addc_u32 s7, s7, s17
	s_addc_u32 s14, s16, 0
	s_mul_i32 s12, s13, s12
	s_add_u32 s7, s7, s12
	s_addc_u32 s12, 0, s14
	s_add_u32 s14, s6, s7
	s_cselect_b64 s[6:7], -1, 0
	s_cmp_lg_u64 s[6:7], 0
	s_addc_u32 s12, s13, s12
	s_mul_i32 s6, s10, s12
	s_mul_hi_u32 s7, s10, s14
	s_add_i32 s6, s7, s6
	s_mul_i32 s11, s11, s14
	s_add_i32 s6, s6, s11
	s_mul_i32 s10, s10, s14
	s_mul_hi_u32 s11, s12, s10
	s_mul_i32 s13, s12, s10
	s_mul_i32 s16, s14, s6
	s_mul_hi_u32 s10, s14, s10
	s_mul_hi_u32 s15, s14, s6
	s_add_u32 s10, s10, s16
	s_addc_u32 s15, 0, s15
	s_add_u32 s10, s10, s13
	s_mul_hi_u32 s7, s12, s6
	s_addc_u32 s10, s15, s11
	s_addc_u32 s7, s7, 0
	s_mul_i32 s6, s12, s6
	s_add_u32 s6, s10, s6
	s_addc_u32 s10, 0, s7
	s_add_u32 s11, s14, s6
	s_cselect_b64 s[6:7], -1, 0
	s_cmp_lg_u64 s[6:7], 0
	s_addc_u32 s10, s12, s10
	v_mad_u64_u32 v[22:23], s[6:7], v19, s10, 0
	v_mul_hi_u32 v24, v19, s11
	v_mov_b32_e32 v25, v3
	v_lshl_add_u64 v[22:23], v[24:25], 0, v[22:23]
	v_mad_u64_u32 v[26:27], s[6:7], v20, s11, 0
	v_add_co_u32_e32 v21, vcc, v22, v26
	v_mad_u64_u32 v[24:25], s[6:7], v20, s10, 0
	s_nop 0
	v_addc_co_u32_e32 v22, vcc, v23, v27, vcc
	v_mov_b32_e32 v23, v3
	s_nop 0
	v_addc_co_u32_e32 v25, vcc, 0, v25, vcc
	v_lshl_add_u64 v[22:23], v[22:23], 0, v[24:25]
	v_mul_lo_u32 v21, s77, v22
	v_mul_lo_u32 v26, s78, v23
	v_mad_u64_u32 v[24:25], s[6:7], s78, v22, 0
	v_add3_u32 v21, v25, v26, v21
	v_sub_u32_e32 v25, v20, v21
	v_mov_b32_e32 v26, s77
	v_sub_co_u32_e32 v19, vcc, v19, v24
	s_nop 1
	v_subb_co_u32_e64 v24, s[6:7], v25, v26, vcc
	v_subrev_co_u32_e64 v25, s[6:7], s78, v19
	v_subb_co_u32_e32 v20, vcc, v20, v21, vcc
	s_nop 0
	v_subbrev_co_u32_e64 v24, s[6:7], 0, v24, s[6:7]
	v_cmp_le_u32_e64 s[6:7], s77, v24
	v_cmp_le_u32_e32 vcc, s77, v20
	s_nop 0
	v_cndmask_b32_e64 v26, 0, -1, s[6:7]
	v_cmp_le_u32_e64 s[6:7], s78, v25
	v_cndmask_b32_e64 v21, 0, -1, vcc
	v_cmp_le_u32_e32 vcc, s78, v19
	v_cndmask_b32_e64 v25, 0, -1, s[6:7]
	v_cmp_eq_u32_e64 s[6:7], s77, v24
	v_cndmask_b32_e64 v19, 0, -1, vcc
	v_cmp_eq_u32_e32 vcc, s77, v20
	v_cndmask_b32_e64 v28, v26, v25, s[6:7]
	v_lshl_add_u64 v[24:25], v[22:23], 0, 2
	v_lshl_add_u64 v[26:27], v[22:23], 0, 1
	v_cmp_ne_u32_e64 s[6:7], 0, v28
	v_cndmask_b32_e32 v19, v21, v19, vcc
	v_cmp_ne_u32_e32 vcc, 0, v19
	v_cndmask_b32_e64 v25, v27, v25, s[6:7]
	v_cndmask_b32_e64 v19, v26, v24, s[6:7]
	v_cndmask_b32_e32 v23, v23, v25, vcc
	v_cndmask_b32_e32 v22, v22, v19, vcc
                                        ; implicit-def: $vgpr19
.LBB1_11:                               ;   in Loop: Header=BB1_9 Depth=2
	s_andn2_saveexec_b64 s[6:7], s[8:9]
	s_cbranch_execz .LBB1_13
; %bb.12:                               ;   in Loop: Header=BB1_9 Depth=2
	v_cvt_f32_u32_e32 v20, s78
	s_sub_i32 s8, 0, s78
	v_mov_b32_e32 v23, v3
	v_rcp_iflag_f32_e32 v20, v20
	s_nop 0
	v_mul_f32_e32 v20, 0x4f7ffffe, v20
	v_cvt_u32_f32_e32 v20, v20
	v_mul_lo_u32 v21, s8, v20
	v_mul_hi_u32 v21, v20, v21
	v_add_u32_e32 v20, v20, v21
	v_mul_hi_u32 v20, v19, v20
	v_mul_lo_u32 v21, v20, s78
	v_sub_u32_e32 v19, v19, v21
	v_add_u32_e32 v22, 1, v20
	v_subrev_u32_e32 v21, s78, v19
	v_cmp_le_u32_e32 vcc, s78, v19
	s_nop 1
	v_cndmask_b32_e32 v19, v19, v21, vcc
	v_cndmask_b32_e32 v20, v20, v22, vcc
	v_add_u32_e32 v21, 1, v20
	v_cmp_le_u32_e32 vcc, s78, v19
	s_nop 1
	v_cndmask_b32_e32 v22, v20, v21, vcc
.LBB1_13:                               ;   in Loop: Header=BB1_9 Depth=2
	s_or_b64 exec, exec, s[6:7]
	v_mov_b64_e32 v[20:21], s[60:61]
	v_mad_i64_i32 v[24:25], s[6:7], s47, v18, 0
	v_mad_i64_i32 v[20:21], s[6:7], s47, v18, v[20:21]
	v_ashrrev_i32_e32 v19, 31, v18
	s_mov_b64 s[6:7], 0
.LBB1_14:                               ;   Parent Loop BB1_6 Depth=1
                                        ;     Parent Loop BB1_9 Depth=2
                                        ; =>    This Inner Loop Header: Depth=3
	v_lshl_add_u64 v[20:21], v[20:21], 0, s[56:57]
	v_cmp_lt_i64_e32 vcc, -1, v[20:21]
	s_or_b64 s[6:7], vcc, s[6:7]
	s_andn2_b64 exec, exec, s[6:7]
	s_cbranch_execnz .LBB1_14
; %bb.15:                               ;   in Loop: Header=BB1_9 Depth=2
	s_or_b64 exec, exec, s[6:7]
	v_mov_b32_e32 v26, s75
	v_subrev_co_u32_e32 v24, vcc, s76, v24
	s_nop 1
	v_subb_co_u32_e32 v25, vcc, v25, v26, vcc
	v_lshl_add_u64 v[24:25], v[24:25], 0, s[52:53]
	v_lshl_add_u64 v[26:27], v[2:3], 0, v[22:23]
	v_mov_b32_e32 v2, s25
	v_cmp_gt_i64_e32 vcc, s[24:25], v[24:25]
	v_mad_u64_u32 v[14:15], s[6:7], v26, s54, v[14:15]
	s_nop 0
	v_cndmask_b32_e32 v23, v2, v25, vcc
	v_mov_b32_e32 v2, s24
	v_cndmask_b32_e32 v22, v2, v24, vcc
	v_mul_lo_u32 v2, v26, s55
	v_mul_lo_u32 v24, v27, s54
	v_add3_u32 v15, v24, v15, v2
	s_mov_b64 s[6:7], -1
	s_and_b64 vcc, exec, s[58:59]
	s_cbranch_vccnz .LBB1_18
; %bb.16:                               ;   in Loop: Header=BB1_9 Depth=2
	s_and_b64 vcc, exec, s[6:7]
	s_cbranch_vccnz .LBB1_64
.LBB1_17:                               ;   in Loop: Header=BB1_9 Depth=2
	s_and_saveexec_b64 s[6:7], s[4:5]
	s_cbranch_execz .LBB1_8
	s_branch .LBB1_76
.LBB1_18:                               ;   in Loop: Header=BB1_9 Depth=2
	v_ashrrev_i32_e32 v39, 31, v14
	v_mul_lo_u32 v2, s41, v14
	v_mul_lo_u32 v26, s40, v39
	v_mad_u64_u32 v[24:25], s[6:7], s40, v14, 0
	v_add3_u32 v25, v25, v26, v2
	v_mov_b32_e32 v38, v14
	v_lshl_add_u64 v[34:35], v[24:25], 3, v[6:7]
	v_ashrrev_i32_e32 v25, 31, v20
	v_mov_b32_e32 v24, v20
	v_cmp_le_i64_e32 vcc, v[16:17], v[38:39]
	v_cmp_le_i64_e64 s[10:11], v[22:23], v[24:25]
	s_or_b64 s[6:7], vcc, s[10:11]
	s_nor_b64 s[8:9], s[6:7], s[2:3]
	v_mov_b64_e32 v[30:31], 0
	v_mul_lo_u32 v2, s43, v24
	v_mul_lo_u32 v42, s42, v25
	v_mov_b64_e32 v[40:41], 0
	s_and_saveexec_b64 s[6:7], s[8:9]
	s_cbranch_execz .LBB1_20
; %bb.19:                               ;   in Loop: Header=BB1_9 Depth=2
	v_mad_u64_u32 v[26:27], s[8:9], s42, v24, 0
	v_add3_u32 v27, v27, v42, v2
	v_lshl_add_u64 v[26:27], v[26:27], 3, v[34:35]
	global_load_dwordx2 v[40:41], v[26:27], off
.LBB1_20:                               ;   in Loop: Header=BB1_9 Depth=2
	s_or_b64 exec, exec, s[6:7]
	v_add_u32_e32 v26, s51, v20
	v_ashrrev_i32_e32 v27, 31, v26
	v_cmp_le_i64_e64 s[12:13], v[22:23], v[26:27]
	s_or_b64 s[6:7], vcc, s[12:13]
	s_nor_b64 s[8:9], s[6:7], s[2:3]
	v_mul_lo_u32 v43, s43, v26
	v_mul_lo_u32 v67, s42, v27
	s_and_saveexec_b64 s[6:7], s[8:9]
	s_cbranch_execz .LBB1_22
; %bb.21:                               ;   in Loop: Header=BB1_9 Depth=2
	v_mad_u64_u32 v[28:29], s[8:9], s42, v26, 0
	v_add3_u32 v29, v29, v67, v43
	v_lshl_add_u64 v[28:29], v[28:29], 3, v[34:35]
	global_load_dwordx2 v[30:31], v[28:29], off
.LBB1_22:                               ;   in Loop: Header=BB1_9 Depth=2
	s_or_b64 exec, exec, s[6:7]
	v_add_u32_e32 v28, s51, v26
	v_ashrrev_i32_e32 v29, 31, v28
	v_cmp_le_i64_e64 s[14:15], v[22:23], v[28:29]
	s_or_b64 s[6:7], vcc, s[14:15]
	s_nor_b64 s[8:9], s[6:7], s[2:3]
	v_mov_b64_e32 v[32:33], 0
	v_mul_lo_u32 v68, s43, v28
	v_mul_lo_u32 v69, s42, v29
	v_mov_b64_e32 v[44:45], 0
	s_and_saveexec_b64 s[6:7], s[8:9]
	s_cbranch_execz .LBB1_24
; %bb.23:                               ;   in Loop: Header=BB1_9 Depth=2
	v_mad_u64_u32 v[36:37], s[8:9], s42, v28, 0
	v_add3_u32 v37, v37, v69, v68
	v_lshl_add_u64 v[34:35], v[36:37], 3, v[34:35]
	global_load_dwordx2 v[44:45], v[34:35], off
.LBB1_24:                               ;   in Loop: Header=BB1_9 Depth=2
	s_or_b64 exec, exec, s[6:7]
	v_add_u32_e32 v52, s50, v14
	v_ashrrev_i32_e32 v53, 31, v52
	v_mul_lo_u32 v36, s40, v53
	v_mul_lo_u32 v37, s41, v52
	v_mad_u64_u32 v[34:35], s[6:7], s40, v52, 0
	v_cmp_le_i64_e64 s[8:9], v[16:17], v[52:53]
	v_add3_u32 v35, v35, v36, v37
	s_or_b64 s[6:7], s[8:9], s[10:11]
	v_lshl_add_u64 v[36:37], v[34:35], 3, v[6:7]
	s_nor_b64 s[16:17], s[6:7], s[2:3]
	s_and_saveexec_b64 s[6:7], s[16:17]
	s_cbranch_execz .LBB1_26
; %bb.25:                               ;   in Loop: Header=BB1_9 Depth=2
	v_mad_u64_u32 v[32:33], s[16:17], s42, v24, 0
	v_add3_u32 v33, v33, v42, v2
	v_lshl_add_u64 v[32:33], v[32:33], 3, v[36:37]
	global_load_dwordx2 v[32:33], v[32:33], off
.LBB1_26:                               ;   in Loop: Header=BB1_9 Depth=2
	s_or_b64 exec, exec, s[6:7]
	s_or_b64 s[6:7], s[8:9], s[12:13]
	s_nor_b64 s[16:17], s[6:7], s[2:3]
	v_mov_b64_e32 v[34:35], 0
	v_mov_b64_e32 v[46:47], 0
	s_and_saveexec_b64 s[6:7], s[16:17]
	s_cbranch_execz .LBB1_28
; %bb.27:                               ;   in Loop: Header=BB1_9 Depth=2
	v_mad_u64_u32 v[46:47], s[16:17], s42, v26, 0
	v_add3_u32 v47, v47, v67, v43
	v_lshl_add_u64 v[46:47], v[46:47], 3, v[36:37]
	global_load_dwordx2 v[46:47], v[46:47], off
.LBB1_28:                               ;   in Loop: Header=BB1_9 Depth=2
	s_or_b64 exec, exec, s[6:7]
	s_or_b64 s[6:7], s[8:9], s[14:15]
	s_nor_b64 s[16:17], s[6:7], s[2:3]
	s_and_saveexec_b64 s[6:7], s[16:17]
	s_cbranch_execz .LBB1_30
; %bb.29:                               ;   in Loop: Header=BB1_9 Depth=2
	v_mad_u64_u32 v[34:35], s[16:17], s42, v28, 0
	v_add3_u32 v35, v35, v69, v68
	v_lshl_add_u64 v[34:35], v[34:35], 3, v[36:37]
	global_load_dwordx2 v[34:35], v[34:35], off
.LBB1_30:                               ;   in Loop: Header=BB1_9 Depth=2
	s_or_b64 exec, exec, s[6:7]
	v_add_u32_e32 v50, s50, v52
	v_ashrrev_i32_e32 v51, 31, v50
	v_mad_u64_u32 v[36:37], s[6:7], s40, v50, 0
	v_mul_lo_u32 v48, s40, v51
	v_mul_lo_u32 v49, s41, v50
	v_cmp_le_i64_e64 s[6:7], v[16:17], v[50:51]
	v_add3_u32 v37, v37, v48, v49
	s_or_b64 s[16:17], s[6:7], s[10:11]
	v_lshl_add_u64 v[54:55], v[36:37], 3, v[6:7]
	s_nor_b64 s[68:69], s[16:17], s[2:3]
	v_mov_b64_e32 v[36:37], 0
	v_mov_b64_e32 v[48:49], 0
	s_and_saveexec_b64 s[16:17], s[68:69]
	s_cbranch_execz .LBB1_32
; %bb.31:                               ;   in Loop: Header=BB1_9 Depth=2
	v_mad_u64_u32 v[48:49], s[68:69], s42, v24, 0
	v_add3_u32 v49, v49, v42, v2
	v_lshl_add_u64 v[48:49], v[48:49], 3, v[54:55]
	global_load_dwordx2 v[48:49], v[48:49], off
.LBB1_32:                               ;   in Loop: Header=BB1_9 Depth=2
	s_or_b64 exec, exec, s[16:17]
	s_or_b64 s[16:17], s[6:7], s[12:13]
	s_nor_b64 s[68:69], s[16:17], s[2:3]
	s_and_saveexec_b64 s[16:17], s[68:69]
	s_cbranch_execz .LBB1_34
; %bb.33:                               ;   in Loop: Header=BB1_9 Depth=2
	v_mad_u64_u32 v[36:37], s[68:69], s42, v26, 0
	v_add3_u32 v37, v37, v67, v43
	v_lshl_add_u64 v[36:37], v[36:37], 3, v[54:55]
	global_load_dwordx2 v[36:37], v[36:37], off
.LBB1_34:                               ;   in Loop: Header=BB1_9 Depth=2
	s_or_b64 exec, exec, s[16:17]
	s_or_b64 s[16:17], s[6:7], s[14:15]
	s_nor_b64 s[68:69], s[16:17], s[2:3]
	v_mov_b64_e32 v[42:43], 0
	s_and_saveexec_b64 s[16:17], s[68:69]
	s_cbranch_execz .LBB1_36
; %bb.35:                               ;   in Loop: Header=BB1_9 Depth=2
	v_mad_u64_u32 v[42:43], s[68:69], s42, v28, 0
	v_add3_u32 v43, v43, v69, v68
	v_lshl_add_u64 v[42:43], v[42:43], 3, v[54:55]
	global_load_dwordx2 v[42:43], v[42:43], off
.LBB1_36:                               ;   in Loop: Header=BB1_9 Depth=2
	s_or_b64 exec, exec, s[16:17]
	v_mul_lo_u32 v2, s25, v38
	v_mul_lo_u32 v54, s24, v39
	v_mad_u64_u32 v[38:39], s[16:17], s24, v38, 0
	s_or_b64 s[68:69], s[2:3], s[10:11]
	v_add3_u32 v39, v39, v54, v2
	s_nor_b64 s[10:11], vcc, s[68:69]
	s_and_saveexec_b64 s[70:71], s[10:11]
	s_cbranch_execz .LBB1_39
; %bb.37:                               ;   in Loop: Header=BB1_9 Depth=2
	ds_read_b64 v[54:55], v60
	s_waitcnt vmcnt(0)
	v_cmp_u_f64_e64 s[16:17], v[40:41], v[40:41]
	s_waitcnt lgkmcnt(0)
	v_cmp_gt_f64_e64 s[10:11], v[40:41], v[54:55]
	s_or_b64 s[10:11], s[16:17], s[10:11]
	s_and_b64 exec, exec, s[10:11]
	s_cbranch_execz .LBB1_39
; %bb.38:                               ;   in Loop: Header=BB1_9 Depth=2
	v_lshl_add_u64 v[54:55], v[38:39], 0, v[24:25]
	ds_write_b64 v60, v[40:41]
	ds_write_b64 v62, v[54:55]
.LBB1_39:                               ;   in Loop: Header=BB1_9 Depth=2
	s_or_b64 exec, exec, s[70:71]
	s_or_b64 s[16:17], s[2:3], s[12:13]
	s_nor_b64 s[10:11], vcc, s[16:17]
	s_and_saveexec_b64 s[70:71], s[10:11]
	s_cbranch_execz .LBB1_42
; %bb.40:                               ;   in Loop: Header=BB1_9 Depth=2
	s_waitcnt vmcnt(0)
	ds_read_b64 v[40:41], v60
	v_cmp_u_f64_e64 s[12:13], v[30:31], v[30:31]
	s_waitcnt lgkmcnt(0)
	v_cmp_gt_f64_e64 s[10:11], v[30:31], v[40:41]
	s_or_b64 s[10:11], s[12:13], s[10:11]
	s_and_b64 exec, exec, s[10:11]
	s_cbranch_execz .LBB1_42
; %bb.41:                               ;   in Loop: Header=BB1_9 Depth=2
	v_lshl_add_u64 v[40:41], v[38:39], 0, v[26:27]
	ds_write_b64 v60, v[30:31]
	ds_write_b64 v62, v[40:41]
.LBB1_42:                               ;   in Loop: Header=BB1_9 Depth=2
	s_or_b64 exec, exec, s[70:71]
	s_or_b64 s[12:13], s[2:3], s[14:15]
	s_nor_b64 s[10:11], vcc, s[12:13]
	s_and_saveexec_b64 s[14:15], s[10:11]
	s_cbranch_execz .LBB1_45
; %bb.43:                               ;   in Loop: Header=BB1_9 Depth=2
	s_waitcnt vmcnt(0)
	ds_read_b64 v[30:31], v60
	v_cmp_u_f64_e64 s[10:11], v[44:45], v[44:45]
	s_waitcnt lgkmcnt(0)
	v_cmp_gt_f64_e32 vcc, v[44:45], v[30:31]
	s_or_b64 s[10:11], s[10:11], vcc
	s_and_b64 exec, exec, s[10:11]
	s_cbranch_execz .LBB1_45
; %bb.44:                               ;   in Loop: Header=BB1_9 Depth=2
	v_lshl_add_u64 v[30:31], v[38:39], 0, v[28:29]
	ds_write_b64 v60, v[44:45]
	ds_write_b64 v62, v[30:31]
.LBB1_45:                               ;   in Loop: Header=BB1_9 Depth=2
	s_or_b64 exec, exec, s[14:15]
	v_mul_lo_u32 v2, s25, v52
	v_mul_lo_u32 v38, s24, v53
	s_waitcnt vmcnt(0)
	v_mad_u64_u32 v[30:31], s[10:11], s24, v52, 0
	v_add3_u32 v31, v31, v38, v2
	s_nor_b64 s[10:11], s[8:9], s[68:69]
	s_and_saveexec_b64 s[14:15], s[10:11]
	s_cbranch_execz .LBB1_48
; %bb.46:                               ;   in Loop: Header=BB1_9 Depth=2
	ds_read_b64 v[38:39], v60
	v_cmp_u_f64_e64 s[10:11], v[32:33], v[32:33]
	s_waitcnt lgkmcnt(0)
	v_cmp_gt_f64_e32 vcc, v[32:33], v[38:39]
	s_or_b64 s[10:11], s[10:11], vcc
	s_and_b64 exec, exec, s[10:11]
	s_cbranch_execz .LBB1_48
; %bb.47:                               ;   in Loop: Header=BB1_9 Depth=2
	v_lshl_add_u64 v[38:39], v[30:31], 0, v[24:25]
	ds_write_b64 v60, v[32:33]
	ds_write_b64 v62, v[38:39]
.LBB1_48:                               ;   in Loop: Header=BB1_9 Depth=2
	s_or_b64 exec, exec, s[14:15]
	s_nor_b64 s[10:11], s[8:9], s[16:17]
	s_and_saveexec_b64 s[14:15], s[10:11]
	s_cbranch_execz .LBB1_51
; %bb.49:                               ;   in Loop: Header=BB1_9 Depth=2
	ds_read_b64 v[32:33], v60
	v_cmp_u_f64_e64 s[10:11], v[46:47], v[46:47]
	s_waitcnt lgkmcnt(0)
	v_cmp_gt_f64_e32 vcc, v[46:47], v[32:33]
	s_or_b64 s[10:11], s[10:11], vcc
	s_and_b64 exec, exec, s[10:11]
	s_cbranch_execz .LBB1_51
; %bb.50:                               ;   in Loop: Header=BB1_9 Depth=2
	v_lshl_add_u64 v[32:33], v[30:31], 0, v[26:27]
	ds_write_b64 v60, v[46:47]
	ds_write_b64 v62, v[32:33]
.LBB1_51:                               ;   in Loop: Header=BB1_9 Depth=2
	s_or_b64 exec, exec, s[14:15]
	;; [unrolled: 17-line block ×3, first 2 shown]
	v_mul_lo_u32 v2, s25, v50
	v_mul_lo_u32 v32, s24, v51
	v_mad_u64_u32 v[30:31], s[8:9], s24, v50, 0
	v_add3_u32 v31, v31, v32, v2
	s_nor_b64 s[8:9], s[6:7], s[68:69]
	s_and_saveexec_b64 s[10:11], s[8:9]
	s_cbranch_execz .LBB1_57
; %bb.55:                               ;   in Loop: Header=BB1_9 Depth=2
	ds_read_b64 v[32:33], v60
	v_cmp_u_f64_e64 s[8:9], v[48:49], v[48:49]
	s_waitcnt lgkmcnt(0)
	v_cmp_gt_f64_e32 vcc, v[48:49], v[32:33]
	s_or_b64 s[8:9], s[8:9], vcc
	s_and_b64 exec, exec, s[8:9]
	s_cbranch_execz .LBB1_57
; %bb.56:                               ;   in Loop: Header=BB1_9 Depth=2
	v_lshl_add_u64 v[24:25], v[30:31], 0, v[24:25]
	ds_write_b64 v60, v[48:49]
	ds_write_b64 v62, v[24:25]
.LBB1_57:                               ;   in Loop: Header=BB1_9 Depth=2
	s_or_b64 exec, exec, s[10:11]
	s_nor_b64 s[8:9], s[6:7], s[16:17]
	s_and_saveexec_b64 s[10:11], s[8:9]
	s_cbranch_execz .LBB1_60
; %bb.58:                               ;   in Loop: Header=BB1_9 Depth=2
	ds_read_b64 v[24:25], v60
	v_cmp_u_f64_e64 s[8:9], v[36:37], v[36:37]
	s_waitcnt lgkmcnt(0)
	v_cmp_gt_f64_e32 vcc, v[36:37], v[24:25]
	s_or_b64 s[8:9], s[8:9], vcc
	s_and_b64 exec, exec, s[8:9]
	s_cbranch_execz .LBB1_60
; %bb.59:                               ;   in Loop: Header=BB1_9 Depth=2
	v_lshl_add_u64 v[24:25], v[30:31], 0, v[26:27]
	ds_write_b64 v60, v[36:37]
	ds_write_b64 v62, v[24:25]
.LBB1_60:                               ;   in Loop: Header=BB1_9 Depth=2
	s_or_b64 exec, exec, s[10:11]
	;; [unrolled: 17-line block ×3, first 2 shown]
	s_branch .LBB1_17
.LBB1_64:                               ;   in Loop: Header=BB1_9 Depth=2
	v_cmp_lt_i64_e32 vcc, v[14:15], v[16:17]
	s_and_saveexec_b64 s[10:11], vcc
	s_cbranch_execz .LBB1_75
; %bb.65:                               ;   in Loop: Header=BB1_9 Depth=2
	v_cmp_lt_i64_e32 vcc, v[20:21], v[22:23]
	s_mov_b64 s[12:13], 0
	v_mov_b64_e32 v[24:25], v[14:15]
	s_branch .LBB1_67
.LBB1_66:                               ;   in Loop: Header=BB1_67 Depth=3
	s_or_b64 exec, exec, s[14:15]
	v_lshl_add_u64 v[24:25], v[24:25], 0, s[54:55]
	v_cmp_ge_i64_e64 s[6:7], v[24:25], v[16:17]
	s_or_b64 s[12:13], s[6:7], s[12:13]
	s_andn2_b64 exec, exec, s[12:13]
	s_cbranch_execz .LBB1_75
.LBB1_67:                               ;   Parent Loop BB1_6 Depth=1
                                        ;     Parent Loop BB1_9 Depth=2
                                        ; =>    This Loop Header: Depth=3
                                        ;         Child Loop BB1_70 Depth 4
                                        ;           Child Loop BB1_73 Depth 5
	s_and_saveexec_b64 s[14:15], vcc
	s_cbranch_execz .LBB1_66
; %bb.68:                               ;   in Loop: Header=BB1_67 Depth=3
	v_mul_lo_u32 v2, v25, s40
	v_mul_lo_u32 v28, v24, s41
	v_mad_u64_u32 v[26:27], s[6:7], v24, s40, 0
	v_add3_u32 v27, v27, v28, v2
	v_mul_lo_u32 v2, v25, s24
	v_mul_lo_u32 v30, v24, s25
	v_mad_u64_u32 v[28:29], s[6:7], v24, s24, 0
	v_lshl_add_u64 v[26:27], v[26:27], 3, s[34:35]
	v_add3_u32 v29, v29, v30, v2
	s_mov_b64 s[16:17], 0
	v_mov_b64_e32 v[30:31], v[20:21]
	s_branch .LBB1_70
.LBB1_69:                               ;   in Loop: Header=BB1_70 Depth=4
	s_or_b64 exec, exec, s[68:69]
	v_lshl_add_u64 v[30:31], v[30:31], 0, s[56:57]
	v_cmp_ge_i64_e64 s[6:7], v[30:31], v[22:23]
	s_or_b64 s[16:17], s[6:7], s[16:17]
	s_andn2_b64 exec, exec, s[16:17]
	s_cbranch_execz .LBB1_66
.LBB1_70:                               ;   Parent Loop BB1_6 Depth=1
                                        ;     Parent Loop BB1_9 Depth=2
                                        ;       Parent Loop BB1_67 Depth=3
                                        ; =>      This Loop Header: Depth=4
                                        ;           Child Loop BB1_73 Depth 5
	s_and_saveexec_b64 s[68:69], s[4:5]
	s_cbranch_execz .LBB1_69
; %bb.71:                               ;   in Loop: Header=BB1_70 Depth=4
	v_mul_lo_u32 v2, v31, s42
	v_mul_lo_u32 v34, v30, s43
	v_mad_u64_u32 v[32:33], s[6:7], v30, s42, 0
	v_add3_u32 v33, v33, v34, v2
	v_lshl_add_u64 v[32:33], v[32:33], 3, v[26:27]
	v_lshl_add_u64 v[34:35], v[30:31], 0, v[28:29]
	s_mov_b64 s[70:71], 0
	v_mov_b32_e32 v2, v61
	v_mov_b64_e32 v[36:37], v[4:5]
	v_mov_b64_e32 v[38:39], v[0:1]
	s_branch .LBB1_73
.LBB1_72:                               ;   in Loop: Header=BB1_73 Depth=5
	s_or_b64 exec, exec, s[6:7]
	v_lshl_add_u64 v[38:39], v[38:39], 0, s[44:45]
	v_cmp_le_i64_e64 s[6:7], s[20:21], v[38:39]
	v_lshl_add_u64 v[36:37], v[36:37], 0, s[38:39]
	s_or_b64 s[70:71], s[6:7], s[70:71]
	v_add_u32_e32 v2, s79, v2
	s_andn2_b64 exec, exec, s[70:71]
	s_cbranch_execz .LBB1_69
.LBB1_73:                               ;   Parent Loop BB1_6 Depth=1
                                        ;     Parent Loop BB1_9 Depth=2
                                        ;       Parent Loop BB1_67 Depth=3
                                        ;         Parent Loop BB1_70 Depth=4
                                        ; =>        This Inner Loop Header: Depth=5
	v_lshl_add_u64 v[40:41], v[36:37], 3, v[32:33]
	global_load_dwordx2 v[40:41], v[40:41], off
	v_add_u32_e32 v42, v2, v63
	ds_read_b64 v[44:45], v42
	s_waitcnt vmcnt(0) lgkmcnt(0)
	v_cmp_gt_f64_e64 s[6:7], v[40:41], v[44:45]
	v_cmp_u_f64_e64 s[8:9], v[40:41], v[40:41]
	s_or_b64 s[8:9], s[8:9], s[6:7]
	s_and_saveexec_b64 s[6:7], s[8:9]
	s_cbranch_execz .LBB1_72
; %bb.74:                               ;   in Loop: Header=BB1_73 Depth=5
	ds_write_b64 v42, v[40:41]
	v_add_u32_e32 v40, v2, v64
	ds_write_b64 v40, v[34:35]
	s_branch .LBB1_72
.LBB1_75:                               ;   in Loop: Header=BB1_9 Depth=2
	s_or_b64 exec, exec, s[10:11]
	s_and_saveexec_b64 s[6:7], s[4:5]
	s_cbranch_execz .LBB1_8
.LBB1_76:                               ;   in Loop: Header=BB1_9 Depth=2
	v_lshl_add_u64 v[20:21], v[12:13], 0, v[18:19]
	v_lshl_add_u64 v[20:21], v[20:21], 3, s[26:27]
	v_mul_lo_u32 v2, s20, v21
	v_mul_lo_u32 v19, s21, v20
	v_mad_u64_u32 v[20:21], s[8:9], s20, v20, v[8:9]
	v_add3_u32 v21, v19, v21, v2
	s_mov_b64 s[8:9], 0
	v_mov_b32_e32 v2, v61
	v_mov_b64_e32 v[22:23], v[0:1]
.LBB1_77:                               ;   Parent Loop BB1_6 Depth=1
                                        ;     Parent Loop BB1_9 Depth=2
                                        ; =>    This Inner Loop Header: Depth=3
	v_add_u32_e32 v19, v2, v63
	v_add_u32_e32 v32, v2, v64
	ds_read_b64 v[28:29], v19
	ds_read_b64 v[30:31], v32
	v_lshl_add_u64 v[22:23], v[22:23], 0, s[44:45]
	v_cmp_le_i64_e32 vcc, s[20:21], v[22:23]
	v_lshl_add_u64 v[24:25], s[28:29], 0, v[20:21]
	v_lshl_add_u64 v[26:27], s[30:31], 0, v[20:21]
	;; [unrolled: 1-line block ×3, first 2 shown]
	v_add_u32_e32 v2, s79, v2
	s_or_b64 s[8:9], vcc, s[8:9]
	ds_write_b64 v19, v[10:11]
	ds_write_b64 v32, v[70:71]
	s_waitcnt lgkmcnt(3)
	global_store_dwordx2 v[24:25], v[28:29], off
	s_waitcnt lgkmcnt(2)
	global_store_dwordx2 v[26:27], v[30:31], off
	s_andn2_b64 exec, exec, s[8:9]
	s_cbranch_execnz .LBB1_77
	s_branch .LBB1_8
.LBB1_78:
	s_endpgm
	.section	.rodata,"a",@progbits
	.p2align	6, 0x0
	.amdhsa_kernel _ZN2at6native12_GLOBAL__N_121max_pool_forward_nhwcIdlEEvPKT_iT0_S6_S6_S6_S6_iiiiiiiiS6_S6_S6_S6_iiPS3_Pl
		.amdhsa_group_segment_fixed_size 0
		.amdhsa_private_segment_fixed_size 0
		.amdhsa_kernarg_size 400
		.amdhsa_user_sgpr_count 2
		.amdhsa_user_sgpr_dispatch_ptr 0
		.amdhsa_user_sgpr_queue_ptr 0
		.amdhsa_user_sgpr_kernarg_segment_ptr 1
		.amdhsa_user_sgpr_dispatch_id 0
		.amdhsa_user_sgpr_kernarg_preload_length 0
		.amdhsa_user_sgpr_kernarg_preload_offset 0
		.amdhsa_user_sgpr_private_segment_size 0
		.amdhsa_uses_dynamic_stack 0
		.amdhsa_enable_private_segment 0
		.amdhsa_system_sgpr_workgroup_id_x 1
		.amdhsa_system_sgpr_workgroup_id_y 1
		.amdhsa_system_sgpr_workgroup_id_z 1
		.amdhsa_system_sgpr_workgroup_info 0
		.amdhsa_system_vgpr_workitem_id 2
		.amdhsa_next_free_vgpr 72
		.amdhsa_next_free_sgpr 80
		.amdhsa_accum_offset 72
		.amdhsa_reserve_vcc 1
		.amdhsa_float_round_mode_32 0
		.amdhsa_float_round_mode_16_64 0
		.amdhsa_float_denorm_mode_32 3
		.amdhsa_float_denorm_mode_16_64 3
		.amdhsa_dx10_clamp 1
		.amdhsa_ieee_mode 1
		.amdhsa_fp16_overflow 0
		.amdhsa_tg_split 0
		.amdhsa_exception_fp_ieee_invalid_op 0
		.amdhsa_exception_fp_denorm_src 0
		.amdhsa_exception_fp_ieee_div_zero 0
		.amdhsa_exception_fp_ieee_overflow 0
		.amdhsa_exception_fp_ieee_underflow 0
		.amdhsa_exception_fp_ieee_inexact 0
		.amdhsa_exception_int_div_zero 0
	.end_amdhsa_kernel
	.section	.text._ZN2at6native12_GLOBAL__N_121max_pool_forward_nhwcIdlEEvPKT_iT0_S6_S6_S6_S6_iiiiiiiiS6_S6_S6_S6_iiPS3_Pl,"axG",@progbits,_ZN2at6native12_GLOBAL__N_121max_pool_forward_nhwcIdlEEvPKT_iT0_S6_S6_S6_S6_iiiiiiiiS6_S6_S6_S6_iiPS3_Pl,comdat
.Lfunc_end1:
	.size	_ZN2at6native12_GLOBAL__N_121max_pool_forward_nhwcIdlEEvPKT_iT0_S6_S6_S6_S6_iiiiiiiiS6_S6_S6_S6_iiPS3_Pl, .Lfunc_end1-_ZN2at6native12_GLOBAL__N_121max_pool_forward_nhwcIdlEEvPKT_iT0_S6_S6_S6_S6_iiiiiiiiS6_S6_S6_S6_iiPS3_Pl
                                        ; -- End function
	.set _ZN2at6native12_GLOBAL__N_121max_pool_forward_nhwcIdlEEvPKT_iT0_S6_S6_S6_S6_iiiiiiiiS6_S6_S6_S6_iiPS3_Pl.num_vgpr, 72
	.set _ZN2at6native12_GLOBAL__N_121max_pool_forward_nhwcIdlEEvPKT_iT0_S6_S6_S6_S6_iiiiiiiiS6_S6_S6_S6_iiPS3_Pl.num_agpr, 0
	.set _ZN2at6native12_GLOBAL__N_121max_pool_forward_nhwcIdlEEvPKT_iT0_S6_S6_S6_S6_iiiiiiiiS6_S6_S6_S6_iiPS3_Pl.numbered_sgpr, 80
	.set _ZN2at6native12_GLOBAL__N_121max_pool_forward_nhwcIdlEEvPKT_iT0_S6_S6_S6_S6_iiiiiiiiS6_S6_S6_S6_iiPS3_Pl.num_named_barrier, 0
	.set _ZN2at6native12_GLOBAL__N_121max_pool_forward_nhwcIdlEEvPKT_iT0_S6_S6_S6_S6_iiiiiiiiS6_S6_S6_S6_iiPS3_Pl.private_seg_size, 0
	.set _ZN2at6native12_GLOBAL__N_121max_pool_forward_nhwcIdlEEvPKT_iT0_S6_S6_S6_S6_iiiiiiiiS6_S6_S6_S6_iiPS3_Pl.uses_vcc, 1
	.set _ZN2at6native12_GLOBAL__N_121max_pool_forward_nhwcIdlEEvPKT_iT0_S6_S6_S6_S6_iiiiiiiiS6_S6_S6_S6_iiPS3_Pl.uses_flat_scratch, 0
	.set _ZN2at6native12_GLOBAL__N_121max_pool_forward_nhwcIdlEEvPKT_iT0_S6_S6_S6_S6_iiiiiiiiS6_S6_S6_S6_iiPS3_Pl.has_dyn_sized_stack, 0
	.set _ZN2at6native12_GLOBAL__N_121max_pool_forward_nhwcIdlEEvPKT_iT0_S6_S6_S6_S6_iiiiiiiiS6_S6_S6_S6_iiPS3_Pl.has_recursion, 0
	.set _ZN2at6native12_GLOBAL__N_121max_pool_forward_nhwcIdlEEvPKT_iT0_S6_S6_S6_S6_iiiiiiiiS6_S6_S6_S6_iiPS3_Pl.has_indirect_call, 0
	.section	.AMDGPU.csdata,"",@progbits
; Kernel info:
; codeLenInByte = 4324
; TotalNumSgprs: 86
; NumVgprs: 72
; NumAgprs: 0
; TotalNumVgprs: 72
; ScratchSize: 0
; MemoryBound: 0
; FloatMode: 240
; IeeeMode: 1
; LDSByteSize: 0 bytes/workgroup (compile time only)
; SGPRBlocks: 10
; VGPRBlocks: 8
; NumSGPRsForWavesPerEU: 86
; NumVGPRsForWavesPerEU: 72
; AccumOffset: 72
; Occupancy: 7
; WaveLimiterHint : 1
; COMPUTE_PGM_RSRC2:SCRATCH_EN: 0
; COMPUTE_PGM_RSRC2:USER_SGPR: 2
; COMPUTE_PGM_RSRC2:TRAP_HANDLER: 0
; COMPUTE_PGM_RSRC2:TGID_X_EN: 1
; COMPUTE_PGM_RSRC2:TGID_Y_EN: 1
; COMPUTE_PGM_RSRC2:TGID_Z_EN: 1
; COMPUTE_PGM_RSRC2:TIDIG_COMP_CNT: 2
; COMPUTE_PGM_RSRC3_GFX90A:ACCUM_OFFSET: 17
; COMPUTE_PGM_RSRC3_GFX90A:TG_SPLIT: 0
	.section	.text._ZN2at6native12_GLOBAL__N_121max_pool_forward_nchwIdiEEvT0_PKT_llliiiiiiiiiiPS4_Pl,"axG",@progbits,_ZN2at6native12_GLOBAL__N_121max_pool_forward_nchwIdiEEvT0_PKT_llliiiiiiiiiiPS4_Pl,comdat
	.globl	_ZN2at6native12_GLOBAL__N_121max_pool_forward_nchwIdiEEvT0_PKT_llliiiiiiiiiiPS4_Pl ; -- Begin function _ZN2at6native12_GLOBAL__N_121max_pool_forward_nchwIdiEEvT0_PKT_llliiiiiiiiiiPS4_Pl
	.p2align	8
	.type	_ZN2at6native12_GLOBAL__N_121max_pool_forward_nchwIdiEEvT0_PKT_llliiiiiiiiiiPS4_Pl,@function
_ZN2at6native12_GLOBAL__N_121max_pool_forward_nchwIdiEEvT0_PKT_llliiiiiiiiiiPS4_Pl: ; @_ZN2at6native12_GLOBAL__N_121max_pool_forward_nchwIdiEEvT0_PKT_llliiiiiiiiiiPS4_Pl
; %bb.0:
	s_load_dword s6, s[0:1], 0x0
	s_load_dword s3, s[0:1], 0x6c
	v_mov_b32_e32 v1, 0
	v_mov_b32_e32 v2, s2
	s_waitcnt lgkmcnt(0)
	s_ashr_i32 s7, s6, 31
	s_add_u32 s4, s0, 0x60
	s_addc_u32 s5, s1, 0
	s_and_b32 s3, s3, 0xffff
	v_mad_u64_u32 v[0:1], s[8:9], s3, v2, v[0:1]
	v_cmp_gt_i64_e32 vcc, s[6:7], v[0:1]
	s_and_saveexec_b64 s[8:9], vcc
	s_cbranch_execz .LBB2_11
; %bb.1:
	s_load_dwordx8 s[8:15], s[0:1], 0x28
	s_load_dwordx2 s[24:25], s[0:1], 0x48
	s_load_dwordx2 s[26:27], s[0:1], 0x8
	s_load_dwordx4 s[16:19], s[0:1], 0x18
	s_load_dwordx4 s[20:23], s[0:1], 0x50
	s_load_dword s2, s[4:5], 0x0
	s_waitcnt lgkmcnt(0)
	s_abs_i32 s48, s9
	v_cvt_f32_u32_e32 v2, s48
	s_abs_i32 s52, s8
	v_cvt_f32_u32_e32 v3, s52
	s_add_i32 s0, s10, -1
	v_rcp_iflag_f32_e32 v2, v2
	s_mul_i32 s33, s24, s0
	s_add_i32 s0, s11, -1
	v_rcp_iflag_f32_e32 v3, v3
	v_mul_f32_e32 v2, 0x4f7ffffe, v2
	v_cvt_u32_f32_e32 v2, v2
	s_mul_i32 s49, s25, s0
	s_sub_i32 s0, 0, s48
	s_max_u32 s50, s24, 1
	v_mul_lo_u32 v4, s0, v2
	v_mul_hi_u32 v4, v2, v4
	v_add_u32_e32 v12, v2, v4
	v_mul_f32_e32 v2, 0x4f7ffffe, v3
	v_cvt_f32_u32_e32 v3, s50
	s_max_u32 s51, s25, 1
	v_cvt_f32_u32_e32 v5, s51
	v_cvt_u32_f32_e32 v2, v2
	v_rcp_iflag_f32_e32 v3, v3
	s_sub_i32 s0, 0, s52
	v_rcp_iflag_f32_e32 v5, v5
	v_mul_lo_u32 v4, s0, v2
	v_mul_f32_e32 v3, 0x4f7ffffe, v3
	v_mul_hi_u32 v4, v2, v4
	v_cvt_u32_f32_e32 v3, v3
	v_add_u32_e32 v13, v2, v4
	v_mul_f32_e32 v4, 0x4f7ffffe, v5
	v_cvt_u32_f32_e32 v4, v4
	s_sub_i32 s0, 0, s50
	v_mul_lo_u32 v2, s0, v3
	v_mul_hi_u32 v2, v3, v2
	s_sub_i32 s0, 0, s51
	v_add_u32_e32 v14, v3, v2
	v_mul_lo_u32 v2, s0, v4
	s_mul_i32 s0, s18, s17
	s_mul_hi_u32 s1, s18, s16
	s_add_i32 s0, s1, s0
	s_mul_i32 s1, s19, s16
	s_add_i32 s1, s0, s1
	s_mul_i32 s0, s18, s16
	s_lshl_b64 s[28:29], s[0:1], 3
	s_ashr_i32 s0, s24, 31
	s_mul_hi_u32 s1, s18, s24
	s_mul_i32 s0, s18, s0
	s_add_i32 s0, s1, s0
	s_mul_i32 s1, s19, s24
	v_mul_hi_u32 v2, v4, v2
	s_add_i32 s31, s0, s1
	s_mul_i32 s30, s24, s18
	s_ashr_i32 s1, s25, 31
	s_mov_b32 s0, s25
	s_add_i32 s33, s33, 1
	s_add_i32 s49, s49, 1
	s_mul_i32 s10, s2, s3
	s_mov_b32 s11, 0
	s_ashr_i32 s53, s9, 31
	s_ashr_i32 s54, s8, 31
	v_add_u32_e32 v15, v4, v2
	s_sub_i32 s17, 0, s15
	s_lshl_b64 s[34:35], s[30:31], 3
	s_lshl_b64 s[36:37], s[0:1], 3
	s_mov_b64 s[38:39], 0
	s_branch .LBB2_4
.LBB2_2:                                ;   in Loop: Header=BB2_4 Depth=1
	s_or_b64 exec, exec, s[42:43]
.LBB2_3:                                ;   in Loop: Header=BB2_4 Depth=1
	s_or_b64 exec, exec, s[40:41]
	v_lshlrev_b64 v[2:3], 3, v[0:1]
	v_lshl_add_u64 v[0:1], v[0:1], 0, s[10:11]
	v_cmp_le_i64_e32 vcc, s[6:7], v[0:1]
	v_lshl_add_u64 v[8:9], s[20:21], 0, v[2:3]
	v_ashrrev_i32_e32 v5, 31, v4
	v_lshl_add_u64 v[2:3], s[22:23], 0, v[2:3]
	s_or_b64 s[38:39], vcc, s[38:39]
	global_store_dwordx2 v[8:9], v[6:7], off
	global_store_dwordx2 v[2:3], v[4:5], off
	s_andn2_b64 exec, exec, s[38:39]
	s_cbranch_execz .LBB2_11
.LBB2_4:                                ; =>This Loop Header: Depth=1
                                        ;     Child Loop BB2_7 Depth 2
                                        ;       Child Loop BB2_9 Depth 3
	v_sub_u32_e32 v3, 0, v0
	v_max_i32_e32 v3, v0, v3
	v_mul_hi_u32 v4, v3, v12
	v_mul_lo_u32 v5, v4, s48
	v_sub_u32_e32 v3, v3, v5
	v_add_u32_e32 v5, 1, v4
	v_cmp_le_u32_e32 vcc, s48, v3
	v_ashrrev_i32_e32 v2, 31, v0
	v_xor_b32_e32 v2, s53, v2
	v_cndmask_b32_e32 v4, v4, v5, vcc
	v_subrev_u32_e32 v5, s48, v3
	v_cndmask_b32_e32 v3, v3, v5, vcc
	v_add_u32_e32 v5, 1, v4
	v_cmp_le_u32_e32 vcc, s48, v3
	s_nop 1
	v_cndmask_b32_e32 v3, v4, v5, vcc
	v_xor_b32_e32 v3, v3, v2
	v_sub_u32_e32 v2, v3, v2
	v_sub_u32_e32 v5, 0, v2
	v_max_i32_e32 v5, v2, v5
	v_mul_hi_u32 v6, v5, v13
	v_mul_lo_u32 v7, v6, s52
	v_sub_u32_e32 v5, v5, v7
	v_add_u32_e32 v7, 1, v6
	v_cmp_le_u32_e32 vcc, s52, v5
	v_ashrrev_i32_e32 v4, 31, v2
	v_xor_b32_e32 v4, s54, v4
	v_cndmask_b32_e32 v6, v6, v7, vcc
	v_subrev_u32_e32 v7, s52, v5
	v_cndmask_b32_e32 v5, v5, v7, vcc
	v_add_u32_e32 v7, 1, v6
	v_cmp_le_u32_e32 vcc, s52, v5
	v_mul_lo_u32 v3, v2, s9
	v_sub_u32_e32 v3, v0, v3
	v_cndmask_b32_e32 v5, v6, v7, vcc
	v_xor_b32_e32 v5, v5, v4
	v_sub_u32_e32 v8, v5, v4
	v_mul_lo_u32 v4, v8, s8
	v_sub_u32_e32 v2, v2, v4
	v_mul_lo_u32 v4, v2, s12
	v_subrev_u32_e32 v2, s14, v4
	v_mul_lo_u32 v9, v3, s13
	v_max_i32_e32 v3, 0, v2
	v_add_u32_e32 v3, s14, v3
	v_cmp_ne_u32_e32 vcc, v3, v4
	v_subrev_u32_e32 v10, s15, v9
	v_add_u32_e32 v5, s33, v2
	v_cndmask_b32_e64 v6, 0, 1, vcc
	v_add_u32_e32 v4, v4, v6
	v_sub_u32_e32 v3, v3, v4
	v_mul_hi_u32 v4, v3, v14
	v_mul_lo_u32 v6, v4, s50
	v_sub_u32_e32 v3, v3, v6
	v_add_u32_e32 v6, 1, v4
	v_cmp_le_u32_e64 s[0:1], s50, v3
	s_nop 1
	v_cndmask_b32_e64 v4, v4, v6, s[0:1]
	v_subrev_u32_e32 v6, s50, v3
	v_cndmask_b32_e64 v3, v3, v6, s[0:1]
	v_add_u32_e32 v6, 1, v4
	v_cmp_le_u32_e64 s[0:1], s50, v3
	s_nop 1
	v_cndmask_b32_e64 v3, v4, v6, s[0:1]
	v_addc_co_u32_e32 v3, vcc, 0, v3, vcc
	v_mad_u64_u32 v[2:3], s[0:1], s24, v3, v[2:3]
	v_max_i32_e32 v3, 0, v10
	v_add_u32_e32 v3, s15, v3
	v_cmp_ne_u32_e32 vcc, v3, v9
	v_mul_lo_u32 v16, v2, s18
	s_nop 0
	v_cndmask_b32_e64 v4, 0, 1, vcc
	v_add_u32_e32 v4, v9, v4
	v_sub_u32_e32 v3, v3, v4
	v_mul_hi_u32 v4, v3, v15
	v_mul_lo_u32 v6, v4, s51
	v_sub_u32_e32 v3, v3, v6
	v_add_u32_e32 v6, 1, v4
	v_cmp_le_u32_e64 s[0:1], s51, v3
	s_nop 1
	v_cndmask_b32_e64 v4, v4, v6, s[0:1]
	v_subrev_u32_e32 v6, s51, v3
	v_cndmask_b32_e64 v3, v3, v6, s[0:1]
	v_add_u32_e32 v6, 1, v4
	v_cmp_le_u32_e64 s[0:1], s51, v3
	s_nop 1
	v_cndmask_b32_e64 v3, v4, v6, s[0:1]
	v_addc_co_u32_e32 v3, vcc, 0, v3, vcc
	v_mul_lo_u32 v11, s25, v3
	v_min_i32_e32 v3, s16, v5
	v_add_u32_e32 v5, v10, v11
	v_mov_b32_e32 v6, 0
	v_add_u32_e32 v4, v5, v16
	v_cmp_lt_i32_e32 vcc, v2, v3
	v_mov_b32_e32 v7, 0xfff00000
	s_and_saveexec_b64 s[40:41], vcc
	s_cbranch_execz .LBB2_3
; %bb.5:                                ;   in Loop: Header=BB2_4 Depth=1
	v_add_u32_e32 v6, s49, v10
	v_min_i32_e32 v17, s18, v6
	v_add3_u32 v6, s17, v11, v9
	v_ashrrev_i32_e32 v10, 31, v2
	v_ashrrev_i32_e32 v7, 31, v6
	v_mad_u64_u32 v[6:7], s[0:1], s18, v2, v[6:7]
	v_mul_lo_u32 v9, s19, v2
	v_mul_lo_u32 v10, s18, v10
	v_add3_u32 v7, v9, v7, v10
	v_ashrrev_i32_e32 v18, 31, v8
	v_lshlrev_b64 v[6:7], 3, v[6:7]
	v_mad_u64_u32 v[6:7], s[0:1], s28, v8, v[6:7]
	v_mul_lo_u32 v8, s29, v8
	v_mul_lo_u32 v9, s28, v18
	v_add3_u32 v7, v8, v7, v9
	v_lshl_add_u64 v[8:9], s[26:27], 0, v[6:7]
	v_mov_b32_e32 v6, 0
	v_cmp_lt_i32_e32 vcc, v5, v17
	v_mov_b32_e32 v7, 0xfff00000
	s_mov_b64 s[42:43], 0
	s_branch .LBB2_7
.LBB2_6:                                ;   in Loop: Header=BB2_7 Depth=2
	s_or_b64 exec, exec, s[44:45]
	v_add_u32_e32 v2, s24, v2
	v_cmp_ge_i32_e64 s[0:1], v2, v3
	v_lshl_add_u64 v[8:9], v[8:9], 0, s[34:35]
	s_or_b64 s[42:43], s[0:1], s[42:43]
	v_add_u32_e32 v16, s30, v16
	s_andn2_b64 exec, exec, s[42:43]
	s_cbranch_execz .LBB2_2
.LBB2_7:                                ;   Parent Loop BB2_4 Depth=1
                                        ; =>  This Loop Header: Depth=2
                                        ;       Child Loop BB2_9 Depth 3
	s_and_saveexec_b64 s[44:45], vcc
	s_cbranch_execz .LBB2_6
; %bb.8:                                ;   in Loop: Header=BB2_7 Depth=2
	s_mov_b64 s[46:47], 0
	v_mov_b64_e32 v[10:11], v[8:9]
	v_mov_b32_e32 v18, v5
.LBB2_9:                                ;   Parent Loop BB2_4 Depth=1
                                        ;     Parent Loop BB2_7 Depth=2
                                        ; =>    This Inner Loop Header: Depth=3
	global_load_dwordx2 v[20:21], v[10:11], off
	v_add_u32_e32 v19, v16, v18
	v_add_u32_e32 v18, s25, v18
	v_cmp_ge_i32_e64 s[0:1], v18, v17
	v_lshl_add_u64 v[10:11], v[10:11], 0, s[36:37]
	s_waitcnt vmcnt(0)
	v_cmp_gt_f64_e64 s[2:3], v[20:21], v[6:7]
	v_cmp_u_f64_e64 s[4:5], v[20:21], v[20:21]
	s_or_b64 s[2:3], s[2:3], s[4:5]
	v_cndmask_b32_e64 v7, v7, v21, s[2:3]
	v_cndmask_b32_e64 v6, v6, v20, s[2:3]
	s_or_b64 s[46:47], s[0:1], s[46:47]
	v_cndmask_b32_e64 v4, v4, v19, s[2:3]
	s_andn2_b64 exec, exec, s[46:47]
	s_cbranch_execnz .LBB2_9
; %bb.10:                               ;   in Loop: Header=BB2_7 Depth=2
	s_or_b64 exec, exec, s[46:47]
	s_branch .LBB2_6
.LBB2_11:
	s_endpgm
	.section	.rodata,"a",@progbits
	.p2align	6, 0x0
	.amdhsa_kernel _ZN2at6native12_GLOBAL__N_121max_pool_forward_nchwIdiEEvT0_PKT_llliiiiiiiiiiPS4_Pl
		.amdhsa_group_segment_fixed_size 0
		.amdhsa_private_segment_fixed_size 0
		.amdhsa_kernarg_size 352
		.amdhsa_user_sgpr_count 2
		.amdhsa_user_sgpr_dispatch_ptr 0
		.amdhsa_user_sgpr_queue_ptr 0
		.amdhsa_user_sgpr_kernarg_segment_ptr 1
		.amdhsa_user_sgpr_dispatch_id 0
		.amdhsa_user_sgpr_kernarg_preload_length 0
		.amdhsa_user_sgpr_kernarg_preload_offset 0
		.amdhsa_user_sgpr_private_segment_size 0
		.amdhsa_uses_dynamic_stack 0
		.amdhsa_enable_private_segment 0
		.amdhsa_system_sgpr_workgroup_id_x 1
		.amdhsa_system_sgpr_workgroup_id_y 0
		.amdhsa_system_sgpr_workgroup_id_z 0
		.amdhsa_system_sgpr_workgroup_info 0
		.amdhsa_system_vgpr_workitem_id 0
		.amdhsa_next_free_vgpr 22
		.amdhsa_next_free_sgpr 55
		.amdhsa_accum_offset 24
		.amdhsa_reserve_vcc 1
		.amdhsa_float_round_mode_32 0
		.amdhsa_float_round_mode_16_64 0
		.amdhsa_float_denorm_mode_32 3
		.amdhsa_float_denorm_mode_16_64 3
		.amdhsa_dx10_clamp 1
		.amdhsa_ieee_mode 1
		.amdhsa_fp16_overflow 0
		.amdhsa_tg_split 0
		.amdhsa_exception_fp_ieee_invalid_op 0
		.amdhsa_exception_fp_denorm_src 0
		.amdhsa_exception_fp_ieee_div_zero 0
		.amdhsa_exception_fp_ieee_overflow 0
		.amdhsa_exception_fp_ieee_underflow 0
		.amdhsa_exception_fp_ieee_inexact 0
		.amdhsa_exception_int_div_zero 0
	.end_amdhsa_kernel
	.section	.text._ZN2at6native12_GLOBAL__N_121max_pool_forward_nchwIdiEEvT0_PKT_llliiiiiiiiiiPS4_Pl,"axG",@progbits,_ZN2at6native12_GLOBAL__N_121max_pool_forward_nchwIdiEEvT0_PKT_llliiiiiiiiiiPS4_Pl,comdat
.Lfunc_end2:
	.size	_ZN2at6native12_GLOBAL__N_121max_pool_forward_nchwIdiEEvT0_PKT_llliiiiiiiiiiPS4_Pl, .Lfunc_end2-_ZN2at6native12_GLOBAL__N_121max_pool_forward_nchwIdiEEvT0_PKT_llliiiiiiiiiiPS4_Pl
                                        ; -- End function
	.set _ZN2at6native12_GLOBAL__N_121max_pool_forward_nchwIdiEEvT0_PKT_llliiiiiiiiiiPS4_Pl.num_vgpr, 22
	.set _ZN2at6native12_GLOBAL__N_121max_pool_forward_nchwIdiEEvT0_PKT_llliiiiiiiiiiPS4_Pl.num_agpr, 0
	.set _ZN2at6native12_GLOBAL__N_121max_pool_forward_nchwIdiEEvT0_PKT_llliiiiiiiiiiPS4_Pl.numbered_sgpr, 55
	.set _ZN2at6native12_GLOBAL__N_121max_pool_forward_nchwIdiEEvT0_PKT_llliiiiiiiiiiPS4_Pl.num_named_barrier, 0
	.set _ZN2at6native12_GLOBAL__N_121max_pool_forward_nchwIdiEEvT0_PKT_llliiiiiiiiiiPS4_Pl.private_seg_size, 0
	.set _ZN2at6native12_GLOBAL__N_121max_pool_forward_nchwIdiEEvT0_PKT_llliiiiiiiiiiPS4_Pl.uses_vcc, 1
	.set _ZN2at6native12_GLOBAL__N_121max_pool_forward_nchwIdiEEvT0_PKT_llliiiiiiiiiiPS4_Pl.uses_flat_scratch, 0
	.set _ZN2at6native12_GLOBAL__N_121max_pool_forward_nchwIdiEEvT0_PKT_llliiiiiiiiiiPS4_Pl.has_dyn_sized_stack, 0
	.set _ZN2at6native12_GLOBAL__N_121max_pool_forward_nchwIdiEEvT0_PKT_llliiiiiiiiiiPS4_Pl.has_recursion, 0
	.set _ZN2at6native12_GLOBAL__N_121max_pool_forward_nchwIdiEEvT0_PKT_llliiiiiiiiiiPS4_Pl.has_indirect_call, 0
	.section	.AMDGPU.csdata,"",@progbits
; Kernel info:
; codeLenInByte = 1308
; TotalNumSgprs: 61
; NumVgprs: 22
; NumAgprs: 0
; TotalNumVgprs: 22
; ScratchSize: 0
; MemoryBound: 0
; FloatMode: 240
; IeeeMode: 1
; LDSByteSize: 0 bytes/workgroup (compile time only)
; SGPRBlocks: 7
; VGPRBlocks: 2
; NumSGPRsForWavesPerEU: 61
; NumVGPRsForWavesPerEU: 22
; AccumOffset: 24
; Occupancy: 8
; WaveLimiterHint : 0
; COMPUTE_PGM_RSRC2:SCRATCH_EN: 0
; COMPUTE_PGM_RSRC2:USER_SGPR: 2
; COMPUTE_PGM_RSRC2:TRAP_HANDLER: 0
; COMPUTE_PGM_RSRC2:TGID_X_EN: 1
; COMPUTE_PGM_RSRC2:TGID_Y_EN: 0
; COMPUTE_PGM_RSRC2:TGID_Z_EN: 0
; COMPUTE_PGM_RSRC2:TIDIG_COMP_CNT: 0
; COMPUTE_PGM_RSRC3_GFX90A:ACCUM_OFFSET: 5
; COMPUTE_PGM_RSRC3_GFX90A:TG_SPLIT: 0
	.section	.text._ZN2at6native12_GLOBAL__N_121max_pool_forward_nchwIdlEEvT0_PKT_llliiiiiiiiiiPS4_Pl,"axG",@progbits,_ZN2at6native12_GLOBAL__N_121max_pool_forward_nchwIdlEEvT0_PKT_llliiiiiiiiiiPS4_Pl,comdat
	.globl	_ZN2at6native12_GLOBAL__N_121max_pool_forward_nchwIdlEEvT0_PKT_llliiiiiiiiiiPS4_Pl ; -- Begin function _ZN2at6native12_GLOBAL__N_121max_pool_forward_nchwIdlEEvT0_PKT_llliiiiiiiiiiPS4_Pl
	.p2align	8
	.type	_ZN2at6native12_GLOBAL__N_121max_pool_forward_nchwIdlEEvT0_PKT_llliiiiiiiiiiPS4_Pl,@function
_ZN2at6native12_GLOBAL__N_121max_pool_forward_nchwIdlEEvT0_PKT_llliiiiiiiiiiPS4_Pl: ; @_ZN2at6native12_GLOBAL__N_121max_pool_forward_nchwIdlEEvT0_PKT_llliiiiiiiiiiPS4_Pl
; %bb.0:
	s_load_dword s3, s[0:1], 0x6c
	s_load_dwordx4 s[16:19], s[0:1], 0x0
	s_add_u32 s4, s0, 0x60
	v_mov_b32_e32 v2, 0
	s_addc_u32 s5, s1, 0
	s_waitcnt lgkmcnt(0)
	s_and_b32 s3, s3, 0xffff
	v_mov_b32_e32 v1, v2
	v_mov_b32_e32 v3, s2
	v_mad_u64_u32 v[0:1], s[6:7], s3, v3, v[0:1]
	v_cmp_gt_i64_e32 vcc, s[16:17], v[0:1]
	s_and_saveexec_b64 s[6:7], vcc
	s_cbranch_execz .LBB3_27
; %bb.1:
	s_load_dwordx8 s[8:15], s[0:1], 0x28
	s_load_dwordx4 s[20:23], s[0:1], 0x18
	s_load_dwordx2 s[6:7], s[0:1], 0x48
	s_load_dwordx4 s[24:27], s[0:1], 0x50
	s_load_dword s2, s[4:5], 0x0
	s_waitcnt lgkmcnt(0)
	v_cvt_f32_u32_e32 v3, s9
	s_add_i32 s0, s10, -1
	s_mul_i32 s53, s6, s0
	s_add_i32 s0, s11, -1
	s_mul_i32 s54, s7, s0
	s_ashr_i32 s11, s6, 31
	s_mov_b32 s10, s6
	v_rcp_iflag_f32_e32 v3, v3
	s_ashr_i32 s33, s9, 31
	s_ashr_i32 s48, s8, 31
	;; [unrolled: 1-line block ×3, first 2 shown]
	s_mov_b32 s50, s12
	s_ashr_i32 s29, s14, 31
	s_ashr_i32 s51, s13, 31
	s_mov_b32 s52, s13
	s_ashr_i32 s13, s15, 31
	s_mov_b32 s12, s15
	s_add_i32 s53, s53, 1
	s_add_i32 s54, s54, 1
	s_ashr_i32 s15, s7, 31
	v_cmp_gt_u64_e64 s[0:1], s[10:11], 1
	s_mov_b32 s28, s14
	s_mov_b32 s14, s7
	s_and_b64 s[0:1], s[0:1], exec
	v_cmp_gt_u64_e64 s[0:1], s[14:15], 1
	s_cselect_b32 s55, s11, 0
	s_cselect_b32 s56, s6, 1
	s_and_b64 s[0:1], s[0:1], exec
	v_mul_f32_e32 v3, 0x4f7ffffe, v3
	s_mul_i32 s0, s22, s21
	s_mul_hi_u32 s1, s22, s20
	v_cvt_u32_f32_e32 v18, v3
	s_cselect_b32 s57, s15, 0
	s_cselect_b32 s58, s7, 1
	s_add_i32 s0, s1, s0
	s_mul_i32 s1, s23, s20
	s_add_i32 s1, s0, s1
	s_mul_i32 s0, s22, s20
	s_mul_i32 s30, s2, s3
	s_mov_b32 s31, 0
	s_lshl_b64 s[34:35], s[0:1], 3
	s_lshl_b64 s[36:37], s[14:15], 3
	s_mov_b64 s[38:39], 0
	s_branch .LBB3_4
.LBB3_2:                                ;   in Loop: Header=BB3_4 Depth=1
	s_or_b64 exec, exec, s[42:43]
.LBB3_3:                                ;   in Loop: Header=BB3_4 Depth=1
	s_or_b64 exec, exec, s[40:41]
	v_lshlrev_b64 v[4:5], 3, v[0:1]
	v_lshl_add_u64 v[0:1], v[0:1], 0, s[30:31]
	v_cmp_le_i64_e32 vcc, s[16:17], v[0:1]
	v_lshl_add_u64 v[6:7], s[24:25], 0, v[4:5]
	v_lshl_add_u64 v[4:5], s[26:27], 0, v[4:5]
	s_or_b64 s[38:39], vcc, s[38:39]
	global_store_dwordx2 v[6:7], v[14:15], off
	global_store_dwordx2 v[4:5], v[8:9], off
	s_andn2_b64 exec, exec, s[38:39]
	s_cbranch_execz .LBB3_27
.LBB3_4:                                ; =>This Loop Header: Depth=1
                                        ;     Child Loop BB3_23 Depth 2
                                        ;       Child Loop BB3_25 Depth 3
	v_or_b32_e32 v3, s33, v1
	v_cmp_ne_u64_e32 vcc, 0, v[2:3]
                                        ; implicit-def: $vgpr6_vgpr7
	s_and_saveexec_b64 s[0:1], vcc
	s_xor_b64 s[2:3], exec, s[0:1]
	s_cbranch_execz .LBB3_6
; %bb.5:                                ;   in Loop: Header=BB3_4 Depth=1
	s_ashr_i32 s4, s33, 31
	s_add_u32 s0, s9, s4
	s_mov_b32 s5, s4
	s_addc_u32 s1, s33, s4
	s_xor_b64 s[40:41], s[0:1], s[4:5]
	v_cvt_f32_u32_e32 v3, s40
	v_cvt_f32_u32_e32 v4, s41
	s_sub_u32 s5, 0, s40
	s_subb_u32 s21, 0, s41
	v_mov_b32_e32 v9, v2
	v_fmac_f32_e32 v3, 0x4f800000, v4
	v_rcp_f32_e32 v3, v3
	s_nop 0
	v_mul_f32_e32 v3, 0x5f7ffffc, v3
	v_mul_f32_e32 v4, 0x2f800000, v3
	v_trunc_f32_e32 v4, v4
	v_fmac_f32_e32 v3, 0xcf800000, v4
	v_cvt_u32_f32_e32 v4, v4
	v_cvt_u32_f32_e32 v3, v3
	v_readfirstlane_b32 s42, v4
	v_readfirstlane_b32 s0, v3
	s_mul_i32 s1, s5, s42
	s_mul_hi_u32 s44, s5, s0
	s_mul_i32 s43, s21, s0
	s_add_i32 s1, s44, s1
	s_add_i32 s1, s1, s43
	s_mul_i32 s45, s5, s0
	s_mul_i32 s44, s0, s1
	s_mul_hi_u32 s46, s0, s45
	s_mul_hi_u32 s43, s0, s1
	s_add_u32 s44, s46, s44
	s_addc_u32 s43, 0, s43
	s_mul_hi_u32 s47, s42, s45
	s_mul_i32 s45, s42, s45
	s_add_u32 s44, s44, s45
	s_mul_hi_u32 s46, s42, s1
	s_addc_u32 s43, s43, s47
	s_addc_u32 s44, s46, 0
	s_mul_i32 s1, s42, s1
	s_add_u32 s1, s43, s1
	s_addc_u32 s43, 0, s44
	s_add_u32 s44, s0, s1
	s_cselect_b64 s[0:1], -1, 0
	s_cmp_lg_u64 s[0:1], 0
	s_addc_u32 s42, s42, s43
	s_mul_i32 s0, s5, s42
	s_mul_hi_u32 s1, s5, s44
	s_add_i32 s0, s1, s0
	s_mul_i32 s21, s21, s44
	s_add_i32 s0, s0, s21
	s_mul_i32 s5, s5, s44
	s_mul_hi_u32 s21, s42, s5
	s_mul_i32 s43, s42, s5
	s_mul_i32 s46, s44, s0
	s_mul_hi_u32 s5, s44, s5
	s_mul_hi_u32 s45, s44, s0
	s_add_u32 s5, s5, s46
	s_addc_u32 s45, 0, s45
	s_add_u32 s5, s5, s43
	s_mul_hi_u32 s1, s42, s0
	s_addc_u32 s5, s45, s21
	s_addc_u32 s1, s1, 0
	s_mul_i32 s0, s42, s0
	s_add_u32 s0, s5, s0
	s_addc_u32 s5, 0, s1
	s_add_u32 s21, s44, s0
	v_ashrrev_i32_e32 v4, 31, v1
	s_cselect_b64 s[0:1], -1, 0
	v_mov_b32_e32 v5, v4
	s_cmp_lg_u64 s[0:1], 0
	v_lshl_add_u64 v[6:7], v[0:1], 0, v[4:5]
	s_addc_u32 s5, s42, s5
	v_xor_b32_e32 v5, v6, v4
	v_xor_b32_e32 v3, v7, v4
	v_mad_u64_u32 v[6:7], s[0:1], v5, s5, 0
	v_mul_hi_u32 v8, v5, s21
	v_lshl_add_u64 v[6:7], v[8:9], 0, v[6:7]
	v_mad_u64_u32 v[10:11], s[0:1], v3, s21, 0
	v_add_co_u32_e32 v6, vcc, v6, v10
	v_mad_u64_u32 v[8:9], s[0:1], v3, s5, 0
	s_nop 0
	v_addc_co_u32_e32 v6, vcc, v7, v11, vcc
	v_mov_b32_e32 v7, v2
	s_nop 0
	v_addc_co_u32_e32 v9, vcc, 0, v9, vcc
	v_lshl_add_u64 v[6:7], v[6:7], 0, v[8:9]
	v_mul_lo_u32 v10, s41, v6
	v_mul_lo_u32 v11, s40, v7
	v_mad_u64_u32 v[8:9], s[0:1], s40, v6, 0
	v_add3_u32 v12, v9, v11, v10
	v_sub_u32_e32 v9, v3, v12
	v_mov_b32_e32 v10, s41
	v_sub_co_u32_e32 v5, vcc, v5, v8
	v_xor_b32_e32 v4, s4, v4
	s_nop 0
	v_subb_co_u32_e64 v8, s[0:1], v9, v10, vcc
	v_subrev_co_u32_e64 v9, s[0:1], s40, v5
	v_subb_co_u32_e32 v3, vcc, v3, v12, vcc
	s_nop 0
	v_subbrev_co_u32_e64 v8, s[0:1], 0, v8, s[0:1]
	v_cmp_le_u32_e64 s[0:1], s41, v8
	v_cmp_le_u32_e32 vcc, s41, v3
	s_nop 0
	v_cndmask_b32_e64 v10, 0, -1, s[0:1]
	v_cmp_le_u32_e64 s[0:1], s40, v9
	s_nop 1
	v_cndmask_b32_e64 v9, 0, -1, s[0:1]
	v_cmp_eq_u32_e64 s[0:1], s41, v8
	s_nop 1
	v_cndmask_b32_e64 v13, v10, v9, s[0:1]
	v_lshl_add_u64 v[8:9], v[6:7], 0, 2
	v_lshl_add_u64 v[10:11], v[6:7], 0, 1
	v_cmp_ne_u32_e64 s[0:1], 0, v13
	s_nop 1
	v_cndmask_b32_e64 v9, v11, v9, s[0:1]
	v_cndmask_b32_e64 v11, 0, -1, vcc
	v_cmp_le_u32_e32 vcc, s40, v5
	s_nop 1
	v_cndmask_b32_e64 v5, 0, -1, vcc
	v_cmp_eq_u32_e32 vcc, s41, v3
	s_nop 1
	v_cndmask_b32_e32 v3, v11, v5, vcc
	v_cmp_ne_u32_e32 vcc, 0, v3
	v_cndmask_b32_e64 v5, v10, v8, s[0:1]
	s_nop 0
	v_cndmask_b32_e32 v5, v6, v5, vcc
	v_cndmask_b32_e32 v3, v7, v9, vcc
	v_xor_b32_e32 v5, v5, v4
	v_xor_b32_e32 v3, v3, v4
	v_sub_co_u32_e32 v6, vcc, v5, v4
	s_nop 1
	v_subb_co_u32_e32 v7, vcc, v3, v4, vcc
.LBB3_6:                                ;   in Loop: Header=BB3_4 Depth=1
	s_andn2_saveexec_b64 s[0:1], s[2:3]
	s_cbranch_execz .LBB3_8
; %bb.7:                                ;   in Loop: Header=BB3_4 Depth=1
	s_sub_i32 s2, 0, s9
	v_mul_lo_u32 v3, s2, v18
	v_mul_hi_u32 v3, v18, v3
	v_add_u32_e32 v3, v18, v3
	v_mul_hi_u32 v3, v0, v3
	v_mul_lo_u32 v4, v3, s9
	v_sub_u32_e32 v4, v0, v4
	v_subrev_u32_e32 v5, s9, v4
	v_cmp_le_u32_e32 vcc, s9, v4
	v_mov_b32_e32 v7, v2
	s_nop 0
	v_cndmask_b32_e32 v4, v4, v5, vcc
	v_add_u32_e32 v5, 1, v3
	v_cndmask_b32_e32 v3, v3, v5, vcc
	v_add_u32_e32 v5, 1, v3
	v_cmp_le_u32_e32 vcc, s9, v4
	s_nop 1
	v_cndmask_b32_e32 v6, v3, v5, vcc
.LBB3_8:                                ;   in Loop: Header=BB3_4 Depth=1
	s_or_b64 exec, exec, s[0:1]
	v_or_b32_e32 v3, s48, v7
	v_cmp_ne_u64_e32 vcc, 0, v[2:3]
                                        ; implicit-def: $vgpr4_vgpr5
	s_and_saveexec_b64 s[0:1], vcc
	s_xor_b64 s[2:3], exec, s[0:1]
	s_cbranch_execz .LBB3_10
; %bb.9:                                ;   in Loop: Header=BB3_4 Depth=1
	s_ashr_i32 s4, s48, 31
	s_add_u32 s0, s8, s4
	s_mov_b32 s5, s4
	s_addc_u32 s1, s48, s4
	s_xor_b64 s[40:41], s[0:1], s[4:5]
	v_cvt_f32_u32_e32 v3, s40
	v_cvt_f32_u32_e32 v4, s41
	s_sub_u32 s5, 0, s40
	s_subb_u32 s21, 0, s41
	v_mov_b32_e32 v11, v2
	v_fmac_f32_e32 v3, 0x4f800000, v4
	v_rcp_f32_e32 v3, v3
	s_nop 0
	v_mul_f32_e32 v3, 0x5f7ffffc, v3
	v_mul_f32_e32 v4, 0x2f800000, v3
	v_trunc_f32_e32 v4, v4
	v_fmac_f32_e32 v3, 0xcf800000, v4
	v_cvt_u32_f32_e32 v4, v4
	v_cvt_u32_f32_e32 v3, v3
	v_readfirstlane_b32 s42, v4
	v_readfirstlane_b32 s0, v3
	s_mul_i32 s1, s5, s42
	s_mul_hi_u32 s44, s5, s0
	s_mul_i32 s43, s21, s0
	s_add_i32 s1, s44, s1
	s_add_i32 s1, s1, s43
	s_mul_i32 s45, s5, s0
	s_mul_i32 s44, s0, s1
	s_mul_hi_u32 s46, s0, s45
	s_mul_hi_u32 s43, s0, s1
	s_add_u32 s44, s46, s44
	s_addc_u32 s43, 0, s43
	s_mul_hi_u32 s47, s42, s45
	s_mul_i32 s45, s42, s45
	s_add_u32 s44, s44, s45
	s_mul_hi_u32 s46, s42, s1
	s_addc_u32 s43, s43, s47
	s_addc_u32 s44, s46, 0
	s_mul_i32 s1, s42, s1
	s_add_u32 s1, s43, s1
	s_addc_u32 s43, 0, s44
	s_add_u32 s44, s0, s1
	s_cselect_b64 s[0:1], -1, 0
	s_cmp_lg_u64 s[0:1], 0
	s_addc_u32 s42, s42, s43
	s_mul_i32 s0, s5, s42
	s_mul_hi_u32 s1, s5, s44
	s_add_i32 s0, s1, s0
	s_mul_i32 s21, s21, s44
	s_add_i32 s0, s0, s21
	s_mul_i32 s5, s5, s44
	s_mul_hi_u32 s21, s42, s5
	s_mul_i32 s43, s42, s5
	s_mul_i32 s46, s44, s0
	s_mul_hi_u32 s5, s44, s5
	s_mul_hi_u32 s45, s44, s0
	s_add_u32 s5, s5, s46
	s_addc_u32 s45, 0, s45
	s_add_u32 s5, s5, s43
	s_mul_hi_u32 s1, s42, s0
	s_addc_u32 s5, s45, s21
	s_addc_u32 s1, s1, 0
	s_mul_i32 s0, s42, s0
	s_add_u32 s0, s5, s0
	s_addc_u32 s5, 0, s1
	s_add_u32 s21, s44, s0
	v_ashrrev_i32_e32 v4, 31, v7
	s_cselect_b64 s[0:1], -1, 0
	v_mov_b32_e32 v5, v4
	s_cmp_lg_u64 s[0:1], 0
	v_lshl_add_u64 v[8:9], v[6:7], 0, v[4:5]
	s_addc_u32 s5, s42, s5
	v_xor_b32_e32 v5, v8, v4
	v_xor_b32_e32 v3, v9, v4
	v_mad_u64_u32 v[8:9], s[0:1], v5, s5, 0
	v_mul_hi_u32 v10, v5, s21
	v_lshl_add_u64 v[8:9], v[10:11], 0, v[8:9]
	v_mad_u64_u32 v[12:13], s[0:1], v3, s21, 0
	v_add_co_u32_e32 v8, vcc, v8, v12
	v_mad_u64_u32 v[10:11], s[0:1], v3, s5, 0
	s_nop 0
	v_addc_co_u32_e32 v8, vcc, v9, v13, vcc
	v_mov_b32_e32 v9, v2
	s_nop 0
	v_addc_co_u32_e32 v11, vcc, 0, v11, vcc
	v_lshl_add_u64 v[8:9], v[8:9], 0, v[10:11]
	v_mul_lo_u32 v12, s41, v8
	v_mul_lo_u32 v13, s40, v9
	v_mad_u64_u32 v[10:11], s[0:1], s40, v8, 0
	v_add3_u32 v14, v11, v13, v12
	v_sub_u32_e32 v11, v3, v14
	v_mov_b32_e32 v12, s41
	v_sub_co_u32_e32 v5, vcc, v5, v10
	s_nop 1
	v_subb_co_u32_e64 v10, s[0:1], v11, v12, vcc
	v_subrev_co_u32_e64 v11, s[0:1], s40, v5
	v_subb_co_u32_e32 v3, vcc, v3, v14, vcc
	s_nop 0
	v_subbrev_co_u32_e64 v10, s[0:1], 0, v10, s[0:1]
	v_cmp_le_u32_e64 s[0:1], s41, v10
	v_cmp_le_u32_e32 vcc, s41, v3
	s_nop 0
	v_cndmask_b32_e64 v12, 0, -1, s[0:1]
	v_cmp_le_u32_e64 s[0:1], s40, v11
	s_nop 1
	v_cndmask_b32_e64 v11, 0, -1, s[0:1]
	v_cmp_eq_u32_e64 s[0:1], s41, v10
	s_nop 1
	v_cndmask_b32_e64 v15, v12, v11, s[0:1]
	v_lshl_add_u64 v[10:11], v[8:9], 0, 2
	v_lshl_add_u64 v[12:13], v[8:9], 0, 1
	v_cmp_ne_u32_e64 s[0:1], 0, v15
	s_nop 1
	v_cndmask_b32_e64 v11, v13, v11, s[0:1]
	v_cndmask_b32_e64 v13, 0, -1, vcc
	v_cmp_le_u32_e32 vcc, s40, v5
	s_nop 1
	v_cndmask_b32_e64 v5, 0, -1, vcc
	v_cmp_eq_u32_e32 vcc, s41, v3
	s_nop 1
	v_cndmask_b32_e32 v3, v13, v5, vcc
	v_cmp_ne_u32_e32 vcc, 0, v3
	v_cndmask_b32_e64 v5, v12, v10, s[0:1]
	s_nop 0
	v_cndmask_b32_e32 v5, v8, v5, vcc
	v_xor_b32_e32 v8, s4, v4
	v_cndmask_b32_e32 v3, v9, v11, vcc
	v_xor_b32_e32 v4, v5, v8
	v_xor_b32_e32 v3, v3, v8
	v_sub_co_u32_e32 v4, vcc, v4, v8
	s_nop 1
	v_subb_co_u32_e32 v5, vcc, v3, v8, vcc
.LBB3_10:                               ;   in Loop: Header=BB3_4 Depth=1
	s_andn2_saveexec_b64 s[0:1], s[2:3]
	s_cbranch_execz .LBB3_12
; %bb.11:                               ;   in Loop: Header=BB3_4 Depth=1
	v_cvt_f32_u32_e32 v3, s8
	s_sub_i32 s2, 0, s8
	v_rcp_iflag_f32_e32 v3, v3
	s_nop 0
	v_mul_f32_e32 v3, 0x4f7ffffe, v3
	v_cvt_u32_f32_e32 v3, v3
	v_mul_lo_u32 v4, s2, v3
	v_mul_hi_u32 v4, v3, v4
	v_add_u32_e32 v3, v3, v4
	v_mul_hi_u32 v3, v6, v3
	v_mul_lo_u32 v4, v3, s8
	v_sub_u32_e32 v4, v6, v4
	v_add_u32_e32 v5, 1, v3
	v_subrev_u32_e32 v8, s8, v4
	v_cmp_le_u32_e32 vcc, s8, v4
	s_nop 1
	v_cndmask_b32_e32 v4, v4, v8, vcc
	v_cndmask_b32_e32 v3, v3, v5, vcc
	v_add_u32_e32 v5, 1, v3
	v_cmp_le_u32_e32 vcc, s8, v4
	s_nop 1
	v_cndmask_b32_e32 v4, v3, v5, vcc
	v_mov_b32_e32 v5, v2
.LBB3_12:                               ;   in Loop: Header=BB3_4 Depth=1
	s_or_b64 exec, exec, s[0:1]
	v_mul_lo_u32 v3, v5, s8
	v_mul_lo_u32 v10, v4, s48
	v_mad_u64_u32 v[8:9], s[0:1], v4, s8, 0
	v_add3_u32 v3, v9, v10, v3
	v_sub_co_u32_e32 v14, vcc, v6, v8
	v_mul_lo_u32 v16, v14, s49
	s_nop 0
	v_subb_co_u32_e32 v3, vcc, v7, v3, vcc
	v_mul_lo_u32 v3, v3, s50
	v_mad_u64_u32 v[10:11], s[0:1], v14, s50, 0
	v_add3_u32 v11, v11, v16, v3
	v_mov_b32_e32 v9, s29
	v_subrev_co_u32_e32 v8, vcc, s28, v10
	s_nop 1
	v_subb_co_u32_e32 v9, vcc, v11, v9, vcc
	v_cmp_lt_i64_e32 vcc, 0, v[8:9]
	s_nop 1
	v_cndmask_b32_e32 v13, 0, v9, vcc
	v_cndmask_b32_e32 v12, 0, v8, vcc
	v_lshl_add_u64 v[12:13], v[12:13], 0, s[28:29]
	v_cmp_ne_u64_e32 vcc, v[12:13], v[10:11]
	v_mov_b32_e32 v11, s31
	s_nop 0
	v_cndmask_b32_e64 v10, 0, 1, vcc
	v_mad_u64_u32 v[14:15], s[0:1], v14, s50, v[10:11]
	v_add3_u32 v3, v3, v15, v16
	v_sub_co_u32_e32 v14, vcc, v12, v14
	s_nop 1
	v_subb_co_u32_e32 v15, vcc, v13, v3, vcc
	v_or_b32_e32 v3, s55, v15
	v_cmp_ne_u64_e32 vcc, 0, v[2:3]
                                        ; implicit-def: $vgpr12_vgpr13
	s_and_saveexec_b64 s[0:1], vcc
	s_xor_b64 s[2:3], exec, s[0:1]
	s_cbranch_execz .LBB3_14
; %bb.13:                               ;   in Loop: Header=BB3_4 Depth=1
	v_cvt_f32_u32_e32 v3, s56
	v_cvt_f32_u32_e32 v12, s55
	s_sub_u32 s4, 0, s56
	s_subb_u32 s5, 0, s55
	v_mov_b32_e32 v17, v2
	v_fmac_f32_e32 v3, 0x4f800000, v12
	v_rcp_f32_e32 v3, v3
	s_nop 0
	v_mul_f32_e32 v3, 0x5f7ffffc, v3
	v_mul_f32_e32 v12, 0x2f800000, v3
	v_trunc_f32_e32 v12, v12
	v_fmac_f32_e32 v3, 0xcf800000, v12
	v_cvt_u32_f32_e32 v12, v12
	v_cvt_u32_f32_e32 v3, v3
	v_readfirstlane_b32 s21, v12
	v_readfirstlane_b32 s0, v3
	s_mul_i32 s1, s4, s21
	s_mul_hi_u32 s41, s4, s0
	s_mul_i32 s40, s5, s0
	s_add_i32 s1, s41, s1
	s_mul_i32 s42, s4, s0
	s_add_i32 s1, s1, s40
	s_mul_i32 s41, s0, s1
	s_mul_hi_u32 s43, s0, s42
	s_mul_hi_u32 s40, s0, s1
	s_add_u32 s41, s43, s41
	s_addc_u32 s40, 0, s40
	s_mul_hi_u32 s44, s21, s42
	s_mul_i32 s42, s21, s42
	s_add_u32 s41, s41, s42
	s_mul_hi_u32 s43, s21, s1
	s_addc_u32 s40, s40, s44
	s_addc_u32 s41, s43, 0
	s_mul_i32 s1, s21, s1
	s_add_u32 s1, s40, s1
	s_addc_u32 s40, 0, s41
	s_add_u32 s41, s0, s1
	s_cselect_b64 s[0:1], -1, 0
	s_cmp_lg_u64 s[0:1], 0
	s_addc_u32 s21, s21, s40
	s_mul_i32 s0, s4, s21
	s_mul_hi_u32 s1, s4, s41
	s_add_i32 s0, s1, s0
	s_mul_i32 s5, s5, s41
	s_add_i32 s0, s0, s5
	s_mul_i32 s4, s4, s41
	s_mul_hi_u32 s5, s21, s4
	s_mul_i32 s40, s21, s4
	s_mul_i32 s43, s41, s0
	s_mul_hi_u32 s4, s41, s4
	s_mul_hi_u32 s42, s41, s0
	s_add_u32 s4, s4, s43
	s_addc_u32 s42, 0, s42
	s_add_u32 s4, s4, s40
	s_mul_hi_u32 s1, s21, s0
	s_addc_u32 s4, s42, s5
	s_addc_u32 s1, s1, 0
	s_mul_i32 s0, s21, s0
	s_add_u32 s0, s4, s0
	s_addc_u32 s4, 0, s1
	s_add_u32 s5, s41, s0
	s_cselect_b64 s[0:1], -1, 0
	s_cmp_lg_u64 s[0:1], 0
	s_addc_u32 s4, s21, s4
	v_mad_u64_u32 v[12:13], s[0:1], v14, s4, 0
	v_mul_hi_u32 v16, v14, s5
	v_lshl_add_u64 v[12:13], v[16:17], 0, v[12:13]
	v_mad_u64_u32 v[20:21], s[0:1], v15, s5, 0
	v_add_co_u32_e32 v3, vcc, v12, v20
	v_mad_u64_u32 v[16:17], s[0:1], v15, s4, 0
	s_nop 0
	v_addc_co_u32_e32 v12, vcc, v13, v21, vcc
	v_mov_b32_e32 v13, v2
	s_nop 0
	v_addc_co_u32_e32 v17, vcc, 0, v17, vcc
	v_lshl_add_u64 v[12:13], v[12:13], 0, v[16:17]
	v_mul_lo_u32 v3, s55, v12
	v_mul_lo_u32 v19, s56, v13
	v_mad_u64_u32 v[16:17], s[0:1], s56, v12, 0
	v_add3_u32 v3, v17, v19, v3
	v_sub_u32_e32 v17, v15, v3
	v_mov_b32_e32 v19, s55
	v_sub_co_u32_e32 v14, vcc, v14, v16
	v_lshl_add_u64 v[20:21], v[12:13], 0, 1
	s_nop 0
	v_subb_co_u32_e64 v16, s[0:1], v17, v19, vcc
	v_subrev_co_u32_e64 v17, s[0:1], s56, v14
	v_subb_co_u32_e32 v3, vcc, v15, v3, vcc
	s_nop 0
	v_subbrev_co_u32_e64 v16, s[0:1], 0, v16, s[0:1]
	v_cmp_le_u32_e64 s[0:1], s55, v16
	v_cmp_le_u32_e32 vcc, s55, v3
	s_nop 0
	v_cndmask_b32_e64 v19, 0, -1, s[0:1]
	v_cmp_le_u32_e64 s[0:1], s56, v17
	v_cndmask_b32_e64 v15, 0, -1, vcc
	v_cmp_le_u32_e32 vcc, s56, v14
	v_cndmask_b32_e64 v17, 0, -1, s[0:1]
	v_cmp_eq_u32_e64 s[0:1], s55, v16
	v_cndmask_b32_e64 v14, 0, -1, vcc
	v_cmp_eq_u32_e32 vcc, s55, v3
	v_cndmask_b32_e64 v19, v19, v17, s[0:1]
	v_lshl_add_u64 v[16:17], v[12:13], 0, 2
	v_cmp_ne_u32_e64 s[0:1], 0, v19
	v_cndmask_b32_e32 v3, v15, v14, vcc
	v_cmp_ne_u32_e32 vcc, 0, v3
	v_cndmask_b32_e64 v17, v21, v17, s[0:1]
	v_cndmask_b32_e64 v3, v20, v16, s[0:1]
	v_cndmask_b32_e32 v13, v13, v17, vcc
	v_cndmask_b32_e32 v12, v12, v3, vcc
                                        ; implicit-def: $vgpr14
.LBB3_14:                               ;   in Loop: Header=BB3_4 Depth=1
	s_andn2_saveexec_b64 s[0:1], s[2:3]
	s_cbranch_execz .LBB3_16
; %bb.15:                               ;   in Loop: Header=BB3_4 Depth=1
	v_cvt_f32_u32_e32 v3, s56
	s_sub_i32 s2, 0, s56
	v_rcp_iflag_f32_e32 v3, v3
	s_nop 0
	v_mul_f32_e32 v3, 0x4f7ffffe, v3
	v_cvt_u32_f32_e32 v3, v3
	v_mul_lo_u32 v12, s2, v3
	v_mul_hi_u32 v12, v3, v12
	v_add_u32_e32 v3, v3, v12
	v_mul_hi_u32 v3, v14, v3
	v_mul_lo_u32 v12, v3, s56
	v_sub_u32_e32 v12, v14, v12
	v_add_u32_e32 v13, 1, v3
	v_subrev_u32_e32 v14, s56, v12
	v_cmp_le_u32_e32 vcc, s56, v12
	s_nop 1
	v_cndmask_b32_e32 v12, v12, v14, vcc
	v_cndmask_b32_e32 v3, v3, v13, vcc
	v_add_u32_e32 v13, 1, v3
	v_cmp_le_u32_e32 vcc, s56, v12
	s_nop 1
	v_cndmask_b32_e32 v12, v3, v13, vcc
	v_mov_b32_e32 v13, v2
.LBB3_16:                               ;   in Loop: Header=BB3_4 Depth=1
	s_or_b64 exec, exec, s[0:1]
	v_mul_lo_u32 v3, v7, s9
	v_mul_lo_u32 v14, v6, s33
	v_mad_u64_u32 v[6:7], s[0:1], v6, s9, 0
	v_add3_u32 v3, v7, v14, v3
	v_sub_co_u32_e32 v19, vcc, v0, v6
	v_mul_lo_u32 v22, v19, s51
	s_nop 0
	v_subb_co_u32_e32 v3, vcc, v1, v3, vcc
	v_mul_lo_u32 v3, v3, s52
	v_mad_u64_u32 v[14:15], s[0:1], v19, s52, 0
	v_add3_u32 v15, v15, v22, v3
	v_mov_b32_e32 v7, s13
	v_subrev_co_u32_e32 v6, vcc, s12, v14
	s_nop 1
	v_subb_co_u32_e32 v7, vcc, v15, v7, vcc
	v_cmp_lt_i64_e32 vcc, 0, v[6:7]
	s_nop 1
	v_cndmask_b32_e32 v17, 0, v7, vcc
	v_cndmask_b32_e32 v16, 0, v6, vcc
	v_lshl_add_u64 v[16:17], v[16:17], 0, s[12:13]
	v_cmp_ne_u64_e32 vcc, v[16:17], v[14:15]
	v_mov_b32_e32 v15, s31
	s_nop 0
	v_cndmask_b32_e64 v14, 0, 1, vcc
	v_mad_u64_u32 v[20:21], s[0:1], v19, s52, v[14:15]
	v_add3_u32 v3, v3, v21, v22
	v_sub_co_u32_e32 v19, vcc, v16, v20
	s_nop 1
	v_subb_co_u32_e32 v20, vcc, v17, v3, vcc
	v_or_b32_e32 v3, s57, v20
	v_cmp_ne_u64_e32 vcc, 0, v[2:3]
                                        ; implicit-def: $vgpr16_vgpr17
	s_and_saveexec_b64 s[0:1], vcc
	s_xor_b64 s[2:3], exec, s[0:1]
	s_cbranch_execz .LBB3_18
; %bb.17:                               ;   in Loop: Header=BB3_4 Depth=1
	v_cvt_f32_u32_e32 v3, s58
	v_cvt_f32_u32_e32 v16, s57
	s_sub_u32 s4, 0, s58
	s_subb_u32 s5, 0, s57
	v_mov_b32_e32 v23, v2
	v_fmac_f32_e32 v3, 0x4f800000, v16
	v_rcp_f32_e32 v3, v3
	s_nop 0
	v_mul_f32_e32 v3, 0x5f7ffffc, v3
	v_mul_f32_e32 v16, 0x2f800000, v3
	v_trunc_f32_e32 v16, v16
	v_fmac_f32_e32 v3, 0xcf800000, v16
	v_cvt_u32_f32_e32 v16, v16
	v_cvt_u32_f32_e32 v3, v3
	v_readfirstlane_b32 s21, v16
	v_readfirstlane_b32 s0, v3
	s_mul_i32 s1, s4, s21
	s_mul_hi_u32 s41, s4, s0
	s_mul_i32 s40, s5, s0
	s_add_i32 s1, s41, s1
	s_mul_i32 s42, s4, s0
	s_add_i32 s1, s1, s40
	s_mul_i32 s41, s0, s1
	s_mul_hi_u32 s43, s0, s42
	s_mul_hi_u32 s40, s0, s1
	s_add_u32 s41, s43, s41
	s_addc_u32 s40, 0, s40
	s_mul_hi_u32 s44, s21, s42
	s_mul_i32 s42, s21, s42
	s_add_u32 s41, s41, s42
	s_mul_hi_u32 s43, s21, s1
	s_addc_u32 s40, s40, s44
	s_addc_u32 s41, s43, 0
	s_mul_i32 s1, s21, s1
	s_add_u32 s1, s40, s1
	s_addc_u32 s40, 0, s41
	s_add_u32 s41, s0, s1
	s_cselect_b64 s[0:1], -1, 0
	s_cmp_lg_u64 s[0:1], 0
	s_addc_u32 s21, s21, s40
	s_mul_i32 s0, s4, s21
	s_mul_hi_u32 s1, s4, s41
	s_add_i32 s0, s1, s0
	s_mul_i32 s5, s5, s41
	s_add_i32 s0, s0, s5
	s_mul_i32 s4, s4, s41
	s_mul_hi_u32 s5, s21, s4
	s_mul_i32 s40, s21, s4
	s_mul_i32 s43, s41, s0
	s_mul_hi_u32 s4, s41, s4
	s_mul_hi_u32 s42, s41, s0
	s_add_u32 s4, s4, s43
	s_addc_u32 s42, 0, s42
	s_add_u32 s4, s4, s40
	s_mul_hi_u32 s1, s21, s0
	s_addc_u32 s4, s42, s5
	s_addc_u32 s1, s1, 0
	s_mul_i32 s0, s21, s0
	s_add_u32 s0, s4, s0
	s_addc_u32 s4, 0, s1
	s_add_u32 s5, s41, s0
	s_cselect_b64 s[0:1], -1, 0
	s_cmp_lg_u64 s[0:1], 0
	s_addc_u32 s4, s21, s4
	v_mad_u64_u32 v[16:17], s[0:1], v19, s4, 0
	v_mul_hi_u32 v22, v19, s5
	v_lshl_add_u64 v[16:17], v[22:23], 0, v[16:17]
	v_mad_u64_u32 v[24:25], s[0:1], v20, s5, 0
	v_add_co_u32_e32 v3, vcc, v16, v24
	v_mad_u64_u32 v[22:23], s[0:1], v20, s4, 0
	s_nop 0
	v_addc_co_u32_e32 v16, vcc, v17, v25, vcc
	v_mov_b32_e32 v17, v2
	s_nop 0
	v_addc_co_u32_e32 v23, vcc, 0, v23, vcc
	v_lshl_add_u64 v[16:17], v[16:17], 0, v[22:23]
	v_mul_lo_u32 v3, s57, v16
	v_mul_lo_u32 v21, s58, v17
	v_mad_u64_u32 v[22:23], s[0:1], s58, v16, 0
	v_add3_u32 v3, v23, v21, v3
	v_sub_u32_e32 v21, v20, v3
	v_mov_b32_e32 v23, s57
	v_sub_co_u32_e32 v19, vcc, v19, v22
	v_lshl_add_u64 v[24:25], v[16:17], 0, 1
	s_nop 0
	v_subb_co_u32_e64 v21, s[0:1], v21, v23, vcc
	v_subrev_co_u32_e64 v22, s[0:1], s58, v19
	v_subb_co_u32_e32 v3, vcc, v20, v3, vcc
	s_nop 0
	v_subbrev_co_u32_e64 v21, s[0:1], 0, v21, s[0:1]
	v_cmp_le_u32_e64 s[0:1], s57, v21
	v_cmp_le_u32_e32 vcc, s57, v3
	s_nop 0
	v_cndmask_b32_e64 v23, 0, -1, s[0:1]
	v_cmp_le_u32_e64 s[0:1], s58, v22
	v_cndmask_b32_e64 v20, 0, -1, vcc
	v_cmp_le_u32_e32 vcc, s58, v19
	v_cndmask_b32_e64 v22, 0, -1, s[0:1]
	v_cmp_eq_u32_e64 s[0:1], s57, v21
	v_cndmask_b32_e64 v19, 0, -1, vcc
	v_cmp_eq_u32_e32 vcc, s57, v3
	v_cndmask_b32_e64 v21, v23, v22, s[0:1]
	v_lshl_add_u64 v[22:23], v[16:17], 0, 2
	v_cmp_ne_u32_e64 s[0:1], 0, v21
	v_cndmask_b32_e32 v3, v20, v19, vcc
	v_cmp_ne_u32_e32 vcc, 0, v3
	v_cndmask_b32_e64 v21, v25, v23, s[0:1]
	v_cndmask_b32_e64 v3, v24, v22, s[0:1]
	v_cndmask_b32_e32 v17, v17, v21, vcc
	v_cndmask_b32_e32 v16, v16, v3, vcc
                                        ; implicit-def: $vgpr19
.LBB3_18:                               ;   in Loop: Header=BB3_4 Depth=1
	s_andn2_saveexec_b64 s[0:1], s[2:3]
	s_cbranch_execz .LBB3_20
; %bb.19:                               ;   in Loop: Header=BB3_4 Depth=1
	v_cvt_f32_u32_e32 v3, s58
	s_sub_i32 s2, 0, s58
	v_rcp_iflag_f32_e32 v3, v3
	s_nop 0
	v_mul_f32_e32 v3, 0x4f7ffffe, v3
	v_cvt_u32_f32_e32 v3, v3
	v_mul_lo_u32 v16, s2, v3
	v_mul_hi_u32 v16, v3, v16
	v_add_u32_e32 v3, v3, v16
	v_mul_hi_u32 v3, v19, v3
	v_mul_lo_u32 v16, v3, s58
	v_sub_u32_e32 v16, v19, v16
	v_add_u32_e32 v17, 1, v3
	v_subrev_u32_e32 v19, s58, v16
	v_cmp_le_u32_e32 vcc, s58, v16
	s_nop 1
	v_cndmask_b32_e32 v16, v16, v19, vcc
	v_cndmask_b32_e32 v3, v3, v17, vcc
	v_add_u32_e32 v17, 1, v3
	v_cmp_le_u32_e32 vcc, s58, v16
	s_nop 1
	v_cndmask_b32_e32 v16, v3, v17, vcc
	v_mov_b32_e32 v17, v2
.LBB3_20:                               ;   in Loop: Header=BB3_4 Depth=1
	s_or_b64 exec, exec, s[0:1]
	v_lshl_add_u64 v[10:11], v[12:13], 0, v[10:11]
	v_mul_lo_u32 v3, v10, s11
	v_mul_lo_u32 v12, v11, s10
	v_mad_u64_u32 v[10:11], s[0:1], v10, s10, v[8:9]
	v_add3_u32 v3, v12, v11, v3
	v_add_u32_e32 v11, s53, v8
	v_lshl_add_u64 v[8:9], v[16:17], 0, v[14:15]
	v_mul_lo_u32 v14, v8, s15
	v_mul_lo_u32 v9, v9, s14
	v_mad_u64_u32 v[12:13], s[0:1], v8, s14, v[6:7]
	v_add3_u32 v13, v9, v13, v14
	v_min_i32_e32 v11, s20, v11
	v_mul_lo_u32 v3, v3, s22
	v_mad_u64_u32 v[8:9], s[0:1], v10, s22, v[12:13]
	v_mul_lo_u32 v7, v10, s23
	v_mov_b32_e32 v14, 0
	v_add3_u32 v9, v3, v9, v7
	v_cmp_gt_i32_e32 vcc, v11, v10
	v_mov_b32_e32 v15, 0xfff00000
	s_and_saveexec_b64 s[40:41], vcc
	s_cbranch_execz .LBB3_3
; %bb.21:                               ;   in Loop: Header=BB3_4 Depth=1
	v_add_u32_e32 v3, s54, v6
	v_mov_b64_e32 v[6:7], s[18:19]
	v_min_i32_e32 v19, s22, v3
	v_mad_u64_u32 v[6:7], s[0:1], s34, v4, v[6:7]
	v_mul_lo_u32 v5, s34, v5
	v_mul_lo_u32 v4, s35, v4
	v_mov_b32_e32 v14, 0
	v_ashrrev_i32_e32 v3, 31, v10
	v_cmp_gt_i32_e32 vcc, v19, v12
	v_add3_u32 v7, v4, v7, v5
	v_mov_b32_e32 v15, 0xfff00000
	s_mov_b64 s[42:43], 0
	s_branch .LBB3_23
.LBB3_22:                               ;   in Loop: Header=BB3_23 Depth=2
	s_or_b64 exec, exec, s[44:45]
	v_add_u32_e32 v10, s6, v10
	v_cmp_ge_i32_e64 s[0:1], v10, v11
	s_or_b64 s[42:43], s[0:1], s[42:43]
	v_ashrrev_i32_e32 v3, 31, v10
	s_andn2_b64 exec, exec, s[42:43]
	s_cbranch_execz .LBB3_2
.LBB3_23:                               ;   Parent Loop BB3_4 Depth=1
                                        ; =>  This Loop Header: Depth=2
                                        ;       Child Loop BB3_25 Depth 3
	s_and_saveexec_b64 s[44:45], vcc
	s_cbranch_execz .LBB3_22
; %bb.24:                               ;   in Loop: Header=BB3_23 Depth=2
	v_ashrrev_i32_e32 v13, 31, v12
	v_mul_lo_u32 v16, v10, s23
	v_mul_lo_u32 v3, v3, s22
	v_mad_u64_u32 v[4:5], s[0:1], v10, s22, v[12:13]
	v_add3_u32 v5, v3, v5, v16
	v_lshl_add_u64 v[16:17], v[4:5], 3, v[6:7]
	s_mov_b64 s[46:47], 0
	v_mov_b32_e32 v3, v12
.LBB3_25:                               ;   Parent Loop BB3_4 Depth=1
                                        ;     Parent Loop BB3_23 Depth=2
                                        ; =>    This Inner Loop Header: Depth=3
	global_load_dwordx2 v[20:21], v[16:17], off
	v_add_u32_e32 v3, s7, v3
	v_cmp_ge_i32_e64 s[0:1], v3, v19
	v_lshl_add_u64 v[16:17], v[16:17], 0, s[36:37]
	s_waitcnt vmcnt(0)
	v_cmp_gt_f64_e64 s[2:3], v[20:21], v[14:15]
	v_cmp_u_f64_e64 s[4:5], v[20:21], v[20:21]
	s_or_b64 s[2:3], s[2:3], s[4:5]
	v_cndmask_b32_e64 v15, v15, v21, s[2:3]
	v_cndmask_b32_e64 v14, v14, v20, s[2:3]
	;; [unrolled: 1-line block ×4, first 2 shown]
	s_or_b64 s[46:47], s[0:1], s[46:47]
	v_lshl_add_u64 v[4:5], v[4:5], 0, s[14:15]
	s_andn2_b64 exec, exec, s[46:47]
	s_cbranch_execnz .LBB3_25
; %bb.26:                               ;   in Loop: Header=BB3_23 Depth=2
	s_or_b64 exec, exec, s[46:47]
	s_branch .LBB3_22
.LBB3_27:
	s_endpgm
	.section	.rodata,"a",@progbits
	.p2align	6, 0x0
	.amdhsa_kernel _ZN2at6native12_GLOBAL__N_121max_pool_forward_nchwIdlEEvT0_PKT_llliiiiiiiiiiPS4_Pl
		.amdhsa_group_segment_fixed_size 0
		.amdhsa_private_segment_fixed_size 0
		.amdhsa_kernarg_size 352
		.amdhsa_user_sgpr_count 2
		.amdhsa_user_sgpr_dispatch_ptr 0
		.amdhsa_user_sgpr_queue_ptr 0
		.amdhsa_user_sgpr_kernarg_segment_ptr 1
		.amdhsa_user_sgpr_dispatch_id 0
		.amdhsa_user_sgpr_kernarg_preload_length 0
		.amdhsa_user_sgpr_kernarg_preload_offset 0
		.amdhsa_user_sgpr_private_segment_size 0
		.amdhsa_uses_dynamic_stack 0
		.amdhsa_enable_private_segment 0
		.amdhsa_system_sgpr_workgroup_id_x 1
		.amdhsa_system_sgpr_workgroup_id_y 0
		.amdhsa_system_sgpr_workgroup_id_z 0
		.amdhsa_system_sgpr_workgroup_info 0
		.amdhsa_system_vgpr_workitem_id 0
		.amdhsa_next_free_vgpr 26
		.amdhsa_next_free_sgpr 59
		.amdhsa_accum_offset 28
		.amdhsa_reserve_vcc 1
		.amdhsa_float_round_mode_32 0
		.amdhsa_float_round_mode_16_64 0
		.amdhsa_float_denorm_mode_32 3
		.amdhsa_float_denorm_mode_16_64 3
		.amdhsa_dx10_clamp 1
		.amdhsa_ieee_mode 1
		.amdhsa_fp16_overflow 0
		.amdhsa_tg_split 0
		.amdhsa_exception_fp_ieee_invalid_op 0
		.amdhsa_exception_fp_denorm_src 0
		.amdhsa_exception_fp_ieee_div_zero 0
		.amdhsa_exception_fp_ieee_overflow 0
		.amdhsa_exception_fp_ieee_underflow 0
		.amdhsa_exception_fp_ieee_inexact 0
		.amdhsa_exception_int_div_zero 0
	.end_amdhsa_kernel
	.section	.text._ZN2at6native12_GLOBAL__N_121max_pool_forward_nchwIdlEEvT0_PKT_llliiiiiiiiiiPS4_Pl,"axG",@progbits,_ZN2at6native12_GLOBAL__N_121max_pool_forward_nchwIdlEEvT0_PKT_llliiiiiiiiiiPS4_Pl,comdat
.Lfunc_end3:
	.size	_ZN2at6native12_GLOBAL__N_121max_pool_forward_nchwIdlEEvT0_PKT_llliiiiiiiiiiPS4_Pl, .Lfunc_end3-_ZN2at6native12_GLOBAL__N_121max_pool_forward_nchwIdlEEvT0_PKT_llliiiiiiiiiiPS4_Pl
                                        ; -- End function
	.set _ZN2at6native12_GLOBAL__N_121max_pool_forward_nchwIdlEEvT0_PKT_llliiiiiiiiiiPS4_Pl.num_vgpr, 26
	.set _ZN2at6native12_GLOBAL__N_121max_pool_forward_nchwIdlEEvT0_PKT_llliiiiiiiiiiPS4_Pl.num_agpr, 0
	.set _ZN2at6native12_GLOBAL__N_121max_pool_forward_nchwIdlEEvT0_PKT_llliiiiiiiiiiPS4_Pl.numbered_sgpr, 59
	.set _ZN2at6native12_GLOBAL__N_121max_pool_forward_nchwIdlEEvT0_PKT_llliiiiiiiiiiPS4_Pl.num_named_barrier, 0
	.set _ZN2at6native12_GLOBAL__N_121max_pool_forward_nchwIdlEEvT0_PKT_llliiiiiiiiiiPS4_Pl.private_seg_size, 0
	.set _ZN2at6native12_GLOBAL__N_121max_pool_forward_nchwIdlEEvT0_PKT_llliiiiiiiiiiPS4_Pl.uses_vcc, 1
	.set _ZN2at6native12_GLOBAL__N_121max_pool_forward_nchwIdlEEvT0_PKT_llliiiiiiiiiiPS4_Pl.uses_flat_scratch, 0
	.set _ZN2at6native12_GLOBAL__N_121max_pool_forward_nchwIdlEEvT0_PKT_llliiiiiiiiiiPS4_Pl.has_dyn_sized_stack, 0
	.set _ZN2at6native12_GLOBAL__N_121max_pool_forward_nchwIdlEEvT0_PKT_llliiiiiiiiiiPS4_Pl.has_recursion, 0
	.set _ZN2at6native12_GLOBAL__N_121max_pool_forward_nchwIdlEEvT0_PKT_llliiiiiiiiiiPS4_Pl.has_indirect_call, 0
	.section	.AMDGPU.csdata,"",@progbits
; Kernel info:
; codeLenInByte = 4104
; TotalNumSgprs: 65
; NumVgprs: 26
; NumAgprs: 0
; TotalNumVgprs: 26
; ScratchSize: 0
; MemoryBound: 0
; FloatMode: 240
; IeeeMode: 1
; LDSByteSize: 0 bytes/workgroup (compile time only)
; SGPRBlocks: 8
; VGPRBlocks: 3
; NumSGPRsForWavesPerEU: 65
; NumVGPRsForWavesPerEU: 26
; AccumOffset: 28
; Occupancy: 8
; WaveLimiterHint : 0
; COMPUTE_PGM_RSRC2:SCRATCH_EN: 0
; COMPUTE_PGM_RSRC2:USER_SGPR: 2
; COMPUTE_PGM_RSRC2:TRAP_HANDLER: 0
; COMPUTE_PGM_RSRC2:TGID_X_EN: 1
; COMPUTE_PGM_RSRC2:TGID_Y_EN: 0
; COMPUTE_PGM_RSRC2:TGID_Z_EN: 0
; COMPUTE_PGM_RSRC2:TIDIG_COMP_CNT: 0
; COMPUTE_PGM_RSRC3_GFX90A:ACCUM_OFFSET: 6
; COMPUTE_PGM_RSRC3_GFX90A:TG_SPLIT: 0
	.section	.text._ZN2at6native12_GLOBAL__N_121max_pool_forward_nhwcIfiEEvPKT_iT0_S6_S6_S6_S6_iiiiiiiiS6_S6_S6_S6_iiPS3_Pl,"axG",@progbits,_ZN2at6native12_GLOBAL__N_121max_pool_forward_nhwcIfiEEvPKT_iT0_S6_S6_S6_S6_iiiiiiiiS6_S6_S6_S6_iiPS3_Pl,comdat
	.globl	_ZN2at6native12_GLOBAL__N_121max_pool_forward_nhwcIfiEEvPKT_iT0_S6_S6_S6_S6_iiiiiiiiS6_S6_S6_S6_iiPS3_Pl ; -- Begin function _ZN2at6native12_GLOBAL__N_121max_pool_forward_nhwcIfiEEvPKT_iT0_S6_S6_S6_S6_iiiiiiiiS6_S6_S6_S6_iiPS3_Pl
	.p2align	8
	.type	_ZN2at6native12_GLOBAL__N_121max_pool_forward_nhwcIfiEEvPKT_iT0_S6_S6_S6_S6_iiiiiiiiS6_S6_S6_S6_iiPS3_Pl,@function
_ZN2at6native12_GLOBAL__N_121max_pool_forward_nhwcIfiEEvPKT_iT0_S6_S6_S6_S6_iiiiiiiiS6_S6_S6_S6_iiPS3_Pl: ; @_ZN2at6native12_GLOBAL__N_121max_pool_forward_nhwcIfiEEvPKT_iT0_S6_S6_S6_S6_iiiiiiiiS6_S6_S6_S6_iiPS3_Pl
; %bb.0:
	s_load_dwordx4 s[8:11], s[0:1], 0x6c
	s_load_dwordx4 s[28:31], s[0:1], 0x48
	v_bfe_u32 v2, v0, 10, 10
	v_bfe_u32 v3, v0, 20, 10
	v_and_b32_e32 v8, 0x3ff, v0
	s_waitcnt lgkmcnt(0)
	s_and_b32 s36, s10, 0xffff
	s_lshr_b32 s56, s10, 16
	s_mul_i32 s37, s31, s36
	s_and_b32 s33, s11, 0xffff
	s_mul_i32 s5, s37, s56
	v_mad_u32_u24 v9, v3, s56, v2
	s_mul_i32 s5, s5, s33
	v_mad_u64_u32 v[0:1], s[6:7], v9, s36, v[8:9]
	v_cmp_gt_u32_e32 vcc, s5, v0
	s_and_saveexec_b64 s[6:7], vcc
	s_cbranch_execz .LBB4_3
; %bb.1:
	s_mul_i32 s12, s56, s36
	s_mul_i32 s12, s12, s33
	s_lshl_b32 s13, s5, 2
	v_lshl_add_u32 v1, v0, 2, 0
	s_lshl_b32 s14, s12, 2
	s_mov_b64 s[10:11], 0
	v_mov_b32_e32 v4, 0xff800000
	v_mov_b32_e32 v5, 0
.LBB4_2:                                ; =>This Inner Loop Header: Depth=1
	v_add_u32_e32 v0, s12, v0
	v_cmp_le_u32_e32 vcc, s5, v0
	v_add_u32_e32 v6, s13, v1
	ds_write_b32 v1, v5
	v_add_u32_e32 v1, s14, v1
	s_or_b64 s[10:11], vcc, s[10:11]
	ds_write_b32 v6, v4
	s_andn2_b64 exec, exec, s[10:11]
	s_cbranch_execnz .LBB4_2
.LBB4_3:
	s_or_b64 exec, exec, s[6:7]
	v_cvt_f32_u32_e32 v0, s9
	s_load_dwordx16 s[12:27], s[0:1], 0x8
	s_sub_i32 s6, 0, s9
	s_waitcnt lgkmcnt(0)
	v_rcp_iflag_f32_e32 v0, v0
	s_barrier
	s_add_i32 s7, s16, s9
	s_add_i32 s7, s7, -1
	v_mul_f32_e32 v0, 0x4f7ffffe, v0
	v_cvt_u32_f32_e32 v0, v0
	v_cvt_f32_u32_e32 v1, s12
	v_readfirstlane_b32 s10, v0
	s_mul_i32 s6, s6, s10
	s_mul_hi_u32 s11, s10, s6
	v_cvt_f32_u32_e32 v0, s8
	s_add_i32 s10, s10, s11
	s_mul_hi_u32 s10, s7, s10
	s_mul_i32 s11, s10, s9
	s_sub_i32 s7, s7, s11
	v_rcp_iflag_f32_e32 v0, v0
	s_add_i32 s11, s10, 1
	s_sub_i32 s34, s7, s9
	v_rcp_iflag_f32_e32 v1, v1
	s_cmp_ge_u32 s7, s9
	s_cselect_b32 s10, s11, s10
	s_cselect_b32 s7, s34, s7
	v_mul_f32_e32 v0, 0x4f7ffffe, v0
	s_add_i32 s11, s10, 1
	v_cvt_u32_f32_e32 v0, v0
	s_cmp_ge_u32 s7, s9
	v_mul_f32_e32 v1, 0x4f7ffffe, v1
	s_cselect_b32 s9, s11, s10
	v_cvt_u32_f32_e32 v1, v1
	s_mul_i32 s4, s9, s4
	v_add_u32_e32 v3, s4, v3
	v_readfirstlane_b32 s7, v0
	v_add_u32_e32 v0, s9, v3
	v_min_i32_e32 v24, s16, v0
	v_readfirstlane_b32 s6, v1
	v_cmp_lt_i32_e32 vcc, v3, v24
	s_and_saveexec_b64 s[10:11], vcc
	s_cbranch_execz .LBB4_74
; %bb.4:
	s_sub_i32 s4, 0, s12
	s_mul_i32 s4, s4, s6
	s_mul_hi_u32 s4, s6, s4
	s_add_i32 s6, s6, s4
	s_mul_hi_u32 s4, s2, s6
	s_add_i32 s6, s17, s8
	s_add_i32 s9, s6, -1
	s_sub_i32 s6, 0, s8
	s_mul_i32 s6, s6, s7
	s_lshl_b32 s5, s5, 2
	s_mul_hi_u32 s6, s7, s6
	s_add_i32 s41, s5, 0
	s_mul_i32 s5, s4, s12
	s_add_i32 s7, s7, s6
	s_sub_i32 s5, s2, s5
	s_mul_hi_u32 s40, s9, s7
	s_add_i32 s6, s4, 1
	s_sub_i32 s7, s5, s12
	s_cmp_ge_u32 s5, s12
	s_cselect_b32 s4, s6, s4
	s_cselect_b32 s5, s7, s5
	s_add_i32 s6, s4, 1
	s_cmp_ge_u32 s5, s12
	s_cselect_b32 s4, s6, s4
	s_mul_i32 s5, s4, s12
	s_mul_i32 s4, s4, s36
	s_load_dwordx2 s[10:11], s[0:1], 0x0
	v_add_u32_e32 v0, s4, v8
	s_mul_i32 s4, s16, s13
	s_sub_i32 s2, s2, s5
	s_mul_i32 s4, s4, s17
	s_mul_i32 s34, s4, s2
	s_mul_i32 s4, s2, s26
	s_ashr_i32 s5, s4, 31
	s_ashr_i32 s35, s34, 31
	s_lshl_b64 s[38:39], s[4:5], 2
	s_load_dwordx4 s[4:7], s[0:1], 0x58
	s_waitcnt lgkmcnt(0)
	s_add_u32 s10, s10, s38
	s_mul_i32 s0, s40, s8
	s_addc_u32 s11, s11, s39
	s_sub_i32 s0, s9, s0
	s_add_i32 s1, s40, 1
	s_sub_i32 s2, s0, s8
	s_cmp_ge_u32 s0, s8
	s_cselect_b32 s1, s1, s40
	s_cselect_b32 s0, s2, s0
	s_add_i32 s2, s1, 1
	s_cmp_ge_u32 s0, s8
	s_cselect_b32 s0, s2, s1
	s_mul_i32 s1, s0, s3
	v_add_u32_e32 v2, s1, v2
	v_add_u32_e32 v4, s0, v2
	s_add_i32 s0, s18, -1
	s_add_i32 s2, s19, -1
	s_mul_i32 s12, s24, s0
	s_mul_i32 s57, s25, s2
	s_add_i32 s12, s12, 1
	s_add_i32 s57, s57, 1
	s_max_i32 s2, s18, s19
	s_cmp_lt_i32 s2, 4
	s_mul_i32 s16, s30, s36
	s_cselect_b64 s[2:3], -1, 0
	s_cmp_le_u32 s13, s16
	s_cselect_b64 s[8:9], -1, 0
	s_max_u32 s58, s24, 1
	v_cvt_f32_u32_e32 v10, s58
	v_mul_lo_u32 v1, s37, v9
	v_min_i32_e32 v25, s17, v4
	v_mul_lo_u32 v4, v0, s27
	v_rcp_iflag_f32_e32 v10, v10
	v_lshlrev_b32_e32 v8, 2, v8
	v_lshlrev_b32_e32 v1, 2, v1
	s_and_b64 s[18:19], s[2:3], s[8:9]
	v_mul_f32_e32 v10, 0x4f7ffffe, v10
	v_cvt_u32_f32_e32 v10, v10
	v_ashrrev_i32_e32 v5, 31, v4
	v_add_u32_e32 v26, 0, v8
	s_sub_i32 s8, 0, s58
	v_lshl_add_u64 v[6:7], v[4:5], 2, s[10:11]
	v_add3_u32 v5, s41, v1, v8
	v_add_u32_e32 v27, v26, v1
	v_mul_lo_u32 v1, s8, v10
	v_mul_hi_u32 v1, v10, v1
	v_add_u32_e32 v28, v10, v1
	s_mul_i32 s8, s56, s33
	v_lshlrev_b32_e32 v1, 2, v9
	v_lshl_add_u32 v1, s8, 2, v1
	v_mul_lo_u32 v1, s31, v1
	s_lshl_b32 s59, s25, 1
	v_mul_lo_u32 v30, v1, s36
	s_lshl_b32 s61, s36, 2
	v_mul_lo_u32 v1, s31, v9
	s_lshl_b64 s[8:9], s[34:35], 2
	v_mul_lo_u32 v1, v1, s36
	s_add_u32 s4, s4, s8
	v_lshlrev_b32_e32 v31, 2, v1
	v_ashrrev_i32_e32 v1, 31, v0
	s_addc_u32 s5, s5, s9
	v_lshl_add_u64 v[8:9], v[0:1], 2, s[4:5]
	v_mad_u64_u32 v[10:11], s[4:5], s17, v3, v[2:3]
	s_mul_i32 s62, s17, s13
	s_ashr_i32 s17, s16, 31
	s_mul_i32 s60, s16, s27
	s_lshl_b64 s[26:27], s[16:17], 2
	s_lshl_b64 s[4:5], s[34:35], 3
	s_add_u32 s4, s6, s4
	s_addc_u32 s5, s7, s5
	v_cmp_lt_i32_e64 s[0:1], v2, v25
	v_cmp_gt_i32_e64 s[2:3], s13, v0
	v_mov_b32_e32 v29, 0
	v_mul_lo_u32 v32, s13, v10
	s_mul_i32 s62, s62, s33
	s_mul_i32 s63, s13, s56
	v_lshl_add_u64 v[10:11], v[0:1], 3, s[4:5]
	s_lshl_b64 s[30:31], s[16:17], 3
	s_mov_b64 s[34:35], 0
	v_mov_b32_e32 v1, 0xff800000
	s_branch .LBB4_6
.LBB4_5:                                ;   in Loop: Header=BB4_6 Depth=1
	s_or_b64 exec, exec, s[36:37]
	v_add_u32_e32 v3, s33, v3
	v_cmp_ge_i32_e32 vcc, v3, v24
	s_or_b64 s[34:35], vcc, s[34:35]
	v_add_u32_e32 v32, s62, v32
	s_andn2_b64 exec, exec, s[34:35]
	s_cbranch_execz .LBB4_74
.LBB4_6:                                ; =>This Loop Header: Depth=1
                                        ;     Child Loop BB4_9 Depth 2
                                        ;       Child Loop BB4_10 Depth 3
                                        ;       Child Loop BB4_63 Depth 3
                                        ;         Child Loop BB4_66 Depth 4
                                        ;           Child Loop BB4_69 Depth 5
                                        ;       Child Loop BB4_73 Depth 3
	s_and_saveexec_b64 s[36:37], s[0:1]
	s_cbranch_execz .LBB4_5
; %bb.7:                                ;   in Loop: Header=BB4_6 Depth=1
	v_mul_lo_u32 v12, v3, s20
	v_subrev_u32_e32 v12, s22, v12
	v_add_u32_e32 v13, s12, v12
	v_min_i32_e32 v33, s14, v13
	s_mov_b64 s[38:39], 0
	v_mov_b32_e32 v14, v32
	v_mov_b32_e32 v34, v2
	s_branch .LBB4_9
.LBB4_8:                                ;   in Loop: Header=BB4_9 Depth=2
	s_or_b64 exec, exec, s[4:5]
	v_add_u32_e32 v34, s56, v34
	v_cmp_ge_i32_e32 vcc, v34, v25
	s_or_b64 s[38:39], vcc, s[38:39]
	v_add_u32_e32 v14, s63, v14
	s_andn2_b64 exec, exec, s[38:39]
	s_cbranch_execz .LBB4_5
.LBB4_9:                                ;   Parent Loop BB4_6 Depth=1
                                        ; =>  This Loop Header: Depth=2
                                        ;       Child Loop BB4_10 Depth 3
                                        ;       Child Loop BB4_63 Depth 3
                                        ;         Child Loop BB4_66 Depth 4
                                        ;           Child Loop BB4_69 Depth 5
                                        ;       Child Loop BB4_73 Depth 3
	v_mul_lo_u32 v13, v34, s21
	v_subrev_u32_e32 v13, s23, v13
	s_mov_b64 s[4:5], 0
	v_mov_b32_e32 v36, v13
.LBB4_10:                               ;   Parent Loop BB4_6 Depth=1
                                        ;     Parent Loop BB4_9 Depth=2
                                        ; =>    This Inner Loop Header: Depth=3
	v_mov_b32_e32 v15, v36
	v_cmp_lt_i32_e32 vcc, -1, v15
	s_or_b64 s[4:5], vcc, s[4:5]
	v_add_u32_e32 v36, s25, v15
	s_andn2_b64 exec, exec, s[4:5]
	s_cbranch_execnz .LBB4_10
; %bb.11:                               ;   in Loop: Header=BB4_9 Depth=2
	s_or_b64 exec, exec, s[4:5]
	v_lshrrev_b32_e32 v17, 31, v12
	s_waitcnt vmcnt(0)
	v_max_i32_e32 v16, 0, v12
	v_add_u32_e32 v18, v12, v17
	v_sub_u32_e32 v16, v16, v18
	v_mul_hi_u32 v18, v16, v28
	v_mul_lo_u32 v19, v18, s58
	v_sub_u32_e32 v16, v16, v19
	v_add_u32_e32 v19, 1, v18
	v_cmp_le_u32_e32 vcc, s58, v16
	v_add_u32_e32 v13, s57, v13
	v_min_i32_e32 v35, s15, v13
	v_cndmask_b32_e32 v18, v18, v19, vcc
	v_subrev_u32_e32 v19, s58, v16
	v_cndmask_b32_e32 v16, v16, v19, vcc
	v_add_u32_e32 v19, 1, v18
	v_cmp_le_u32_e32 vcc, s58, v16
	s_nop 1
	v_cndmask_b32_e32 v16, v18, v19, vcc
	v_add_u32_e32 v16, v17, v16
	v_mad_u64_u32 v[12:13], s[4:5], s24, v16, v[12:13]
	s_mov_b64 s[4:5], -1
	s_and_b64 vcc, exec, s[18:19]
	v_cmp_lt_i32_e64 s[8:9], v12, v33
	s_cbranch_vccnz .LBB4_14
; %bb.12:                               ;   in Loop: Header=BB4_9 Depth=2
	s_and_b64 vcc, exec, s[4:5]
	s_cbranch_vccnz .LBB4_60
.LBB4_13:                               ;   in Loop: Header=BB4_9 Depth=2
	s_and_saveexec_b64 s[4:5], s[2:3]
	s_cbranch_execz .LBB4_8
	s_branch .LBB4_72
.LBB4_14:                               ;   in Loop: Header=BB4_9 Depth=2
	v_mul_lo_u32 v16, v12, s28
	v_ashrrev_i32_e32 v17, 31, v16
	v_cmp_lt_i32_e32 vcc, v15, v35
	v_lshl_add_u64 v[22:23], v[16:17], 2, v[6:7]
	s_and_b64 s[4:5], s[8:9], vcc
	v_mul_lo_u32 v16, v15, s29
	s_and_b64 s[44:45], s[2:3], s[4:5]
	v_mov_b32_e32 v37, 0
	v_ashrrev_i32_e32 v17, 31, v16
	v_mov_b32_e32 v42, 0
	s_and_saveexec_b64 s[4:5], s[44:45]
	s_cbranch_execz .LBB4_16
; %bb.15:                               ;   in Loop: Header=BB4_9 Depth=2
	v_lshl_add_u64 v[18:19], v[16:17], 2, v[22:23]
	global_load_dword v42, v[18:19], off
.LBB4_16:                               ;   in Loop: Header=BB4_9 Depth=2
	s_or_b64 exec, exec, s[4:5]
	v_cmp_lt_i32_e64 s[4:5], v36, v35
	s_and_b64 s[6:7], s[8:9], s[4:5]
	v_mul_lo_u32 v18, v36, s29
	s_and_b64 s[46:47], s[2:3], s[6:7]
	v_ashrrev_i32_e32 v19, 31, v18
	s_and_saveexec_b64 s[6:7], s[46:47]
	s_cbranch_execz .LBB4_18
; %bb.17:                               ;   in Loop: Header=BB4_9 Depth=2
	v_lshl_add_u64 v[20:21], v[18:19], 2, v[22:23]
	global_load_dword v37, v[20:21], off
.LBB4_18:                               ;   in Loop: Header=BB4_9 Depth=2
	s_or_b64 exec, exec, s[6:7]
	v_add_u32_e32 v13, s59, v15
	v_cmp_lt_i32_e64 s[6:7], v13, v35
	s_and_b64 s[8:9], s[8:9], s[6:7]
	v_mul_lo_u32 v20, v13, s29
	s_and_b64 s[48:49], s[2:3], s[8:9]
	v_mov_b32_e32 v38, 0
	v_ashrrev_i32_e32 v21, 31, v20
	v_mov_b32_e32 v44, 0
	s_and_saveexec_b64 s[8:9], s[48:49]
	s_cbranch_execz .LBB4_20
; %bb.19:                               ;   in Loop: Header=BB4_9 Depth=2
	v_lshl_add_u64 v[22:23], v[20:21], 2, v[22:23]
	global_load_dword v44, v[22:23], off
.LBB4_20:                               ;   in Loop: Header=BB4_9 Depth=2
	s_or_b64 exec, exec, s[8:9]
	v_add_u32_e32 v46, s24, v12
	v_mul_lo_u32 v22, v46, s28
	v_cmp_lt_i32_e64 s[8:9], v46, v33
	v_ashrrev_i32_e32 v23, 31, v22
	s_and_b64 s[40:41], s[8:9], vcc
	v_lshl_add_u64 v[22:23], v[22:23], 2, v[6:7]
	s_and_b64 s[54:55], s[2:3], s[40:41]
	s_and_saveexec_b64 s[40:41], s[54:55]
	s_cbranch_execz .LBB4_22
; %bb.21:                               ;   in Loop: Header=BB4_9 Depth=2
	v_lshl_add_u64 v[38:39], v[16:17], 2, v[22:23]
	global_load_dword v38, v[38:39], off
.LBB4_22:                               ;   in Loop: Header=BB4_9 Depth=2
	s_or_b64 exec, exec, s[40:41]
	s_and_b64 s[40:41], s[8:9], s[4:5]
	s_and_b64 s[52:53], s[2:3], s[40:41]
	v_mov_b32_e32 v40, 0
	v_mov_b32_e32 v43, 0
	s_and_saveexec_b64 s[40:41], s[52:53]
	s_cbranch_execz .LBB4_24
; %bb.23:                               ;   in Loop: Header=BB4_9 Depth=2
	v_lshl_add_u64 v[48:49], v[18:19], 2, v[22:23]
	global_load_dword v43, v[48:49], off
.LBB4_24:                               ;   in Loop: Header=BB4_9 Depth=2
	s_or_b64 exec, exec, s[40:41]
	s_and_b64 s[8:9], s[8:9], s[6:7]
	s_and_b64 s[42:43], s[2:3], s[8:9]
	s_and_saveexec_b64 s[8:9], s[42:43]
	s_cbranch_execz .LBB4_26
; %bb.25:                               ;   in Loop: Header=BB4_9 Depth=2
	v_lshl_add_u64 v[22:23], v[20:21], 2, v[22:23]
	global_load_dword v40, v[22:23], off
.LBB4_26:                               ;   in Loop: Header=BB4_9 Depth=2
	s_or_b64 exec, exec, s[8:9]
	v_add_u32_e32 v45, s24, v46
	v_mul_lo_u32 v22, v45, s28
	v_cmp_lt_i32_e64 s[8:9], v45, v33
	v_ashrrev_i32_e32 v23, 31, v22
	s_and_b64 s[40:41], s[8:9], vcc
	v_lshl_add_u64 v[22:23], v[22:23], 2, v[6:7]
	s_and_b64 s[50:51], s[2:3], s[40:41]
	v_mov_b32_e32 v39, 0
	v_mov_b32_e32 v41, 0
	s_and_saveexec_b64 s[40:41], s[50:51]
	s_cbranch_execz .LBB4_28
; %bb.27:                               ;   in Loop: Header=BB4_9 Depth=2
	v_lshl_add_u64 v[16:17], v[16:17], 2, v[22:23]
	global_load_dword v41, v[16:17], off
.LBB4_28:                               ;   in Loop: Header=BB4_9 Depth=2
	s_or_b64 exec, exec, s[40:41]
	s_and_b64 s[4:5], s[8:9], s[4:5]
	s_and_b64 s[40:41], s[2:3], s[4:5]
	s_and_saveexec_b64 s[4:5], s[40:41]
	s_cbranch_execz .LBB4_30
; %bb.29:                               ;   in Loop: Header=BB4_9 Depth=2
	v_lshl_add_u64 v[16:17], v[18:19], 2, v[22:23]
	global_load_dword v39, v[16:17], off
.LBB4_30:                               ;   in Loop: Header=BB4_9 Depth=2
	s_or_b64 exec, exec, s[4:5]
	s_and_b64 s[4:5], s[8:9], s[6:7]
	s_and_b64 s[6:7], s[2:3], s[4:5]
	v_mov_b32_e32 v16, 0
	s_and_saveexec_b64 s[4:5], s[6:7]
	s_cbranch_execz .LBB4_32
; %bb.31:                               ;   in Loop: Header=BB4_9 Depth=2
	v_lshl_add_u64 v[16:17], v[20:21], 2, v[22:23]
	global_load_dword v16, v[16:17], off
.LBB4_32:                               ;   in Loop: Header=BB4_9 Depth=2
	s_or_b64 exec, exec, s[4:5]
	v_mul_lo_u32 v17, v12, s15
	s_and_saveexec_b64 s[8:9], s[44:45]
	s_cbranch_execz .LBB4_35
; %bb.33:                               ;   in Loop: Header=BB4_9 Depth=2
	ds_read_b32 v18, v5
	s_waitcnt vmcnt(0)
	v_cmp_u_f32_e64 s[4:5], v42, v42
	s_waitcnt lgkmcnt(0)
	v_cmp_gt_f32_e32 vcc, v42, v18
	s_or_b64 s[4:5], s[4:5], vcc
	s_and_b64 exec, exec, s[4:5]
	s_cbranch_execz .LBB4_35
; %bb.34:                               ;   in Loop: Header=BB4_9 Depth=2
	v_add_u32_e32 v18, v15, v17
	ds_write_b32 v5, v42
	ds_write_b32 v27, v18
.LBB4_35:                               ;   in Loop: Header=BB4_9 Depth=2
	s_or_b64 exec, exec, s[8:9]
	s_and_saveexec_b64 s[8:9], s[46:47]
	s_cbranch_execz .LBB4_38
; %bb.36:                               ;   in Loop: Header=BB4_9 Depth=2
	ds_read_b32 v18, v5
	s_waitcnt vmcnt(0)
	v_cmp_u_f32_e64 s[4:5], v37, v37
	s_waitcnt lgkmcnt(0)
	v_cmp_gt_f32_e32 vcc, v37, v18
	s_or_b64 s[4:5], s[4:5], vcc
	s_and_b64 exec, exec, s[4:5]
	s_cbranch_execz .LBB4_38
; %bb.37:                               ;   in Loop: Header=BB4_9 Depth=2
	v_add_u32_e32 v18, v36, v17
	ds_write_b32 v5, v37
	ds_write_b32 v27, v18
.LBB4_38:                               ;   in Loop: Header=BB4_9 Depth=2
	s_or_b64 exec, exec, s[8:9]
	s_and_saveexec_b64 s[8:9], s[48:49]
	s_cbranch_execz .LBB4_41
; %bb.39:                               ;   in Loop: Header=BB4_9 Depth=2
	ds_read_b32 v18, v5
	s_waitcnt vmcnt(0)
	v_cmp_u_f32_e64 s[4:5], v44, v44
	s_waitcnt lgkmcnt(0)
	v_cmp_gt_f32_e32 vcc, v44, v18
	s_or_b64 s[4:5], s[4:5], vcc
	s_and_b64 exec, exec, s[4:5]
	s_cbranch_execz .LBB4_41
; %bb.40:                               ;   in Loop: Header=BB4_9 Depth=2
	v_add_u32_e32 v17, v13, v17
	ds_write_b32 v5, v44
	ds_write_b32 v27, v17
.LBB4_41:                               ;   in Loop: Header=BB4_9 Depth=2
	s_or_b64 exec, exec, s[8:9]
	v_mul_lo_u32 v17, v46, s15
	s_and_saveexec_b64 s[8:9], s[54:55]
	s_cbranch_execz .LBB4_44
; %bb.42:                               ;   in Loop: Header=BB4_9 Depth=2
	ds_read_b32 v18, v5
	s_waitcnt vmcnt(0)
	v_cmp_u_f32_e64 s[4:5], v38, v38
	s_waitcnt lgkmcnt(0)
	v_cmp_gt_f32_e32 vcc, v38, v18
	s_or_b64 s[4:5], s[4:5], vcc
	s_and_b64 exec, exec, s[4:5]
	s_cbranch_execz .LBB4_44
; %bb.43:                               ;   in Loop: Header=BB4_9 Depth=2
	v_add_u32_e32 v18, v15, v17
	ds_write_b32 v5, v38
	ds_write_b32 v27, v18
.LBB4_44:                               ;   in Loop: Header=BB4_9 Depth=2
	s_or_b64 exec, exec, s[8:9]
	s_and_saveexec_b64 s[8:9], s[52:53]
	s_cbranch_execz .LBB4_47
; %bb.45:                               ;   in Loop: Header=BB4_9 Depth=2
	ds_read_b32 v18, v5
	s_waitcnt vmcnt(0)
	v_cmp_u_f32_e64 s[4:5], v43, v43
	s_waitcnt lgkmcnt(0)
	v_cmp_gt_f32_e32 vcc, v43, v18
	s_or_b64 s[4:5], s[4:5], vcc
	s_and_b64 exec, exec, s[4:5]
	s_cbranch_execz .LBB4_47
; %bb.46:                               ;   in Loop: Header=BB4_9 Depth=2
	v_add_u32_e32 v18, v36, v17
	ds_write_b32 v5, v43
	ds_write_b32 v27, v18
.LBB4_47:                               ;   in Loop: Header=BB4_9 Depth=2
	s_or_b64 exec, exec, s[8:9]
	s_and_saveexec_b64 s[8:9], s[42:43]
	s_cbranch_execz .LBB4_50
; %bb.48:                               ;   in Loop: Header=BB4_9 Depth=2
	ds_read_b32 v18, v5
	s_waitcnt vmcnt(0)
	v_cmp_u_f32_e64 s[4:5], v40, v40
	s_waitcnt lgkmcnt(0)
	v_cmp_gt_f32_e32 vcc, v40, v18
	s_or_b64 s[4:5], s[4:5], vcc
	s_and_b64 exec, exec, s[4:5]
	s_cbranch_execz .LBB4_50
; %bb.49:                               ;   in Loop: Header=BB4_9 Depth=2
	v_add_u32_e32 v17, v13, v17
	ds_write_b32 v5, v40
	ds_write_b32 v27, v17
.LBB4_50:                               ;   in Loop: Header=BB4_9 Depth=2
	;; [unrolled: 52-line block ×3, first 2 shown]
	s_or_b64 exec, exec, s[8:9]
	s_branch .LBB4_13
.LBB4_60:                               ;   in Loop: Header=BB4_9 Depth=2
	v_cmp_lt_i32_e32 vcc, v12, v33
	s_and_saveexec_b64 s[8:9], vcc
	s_cbranch_execz .LBB4_71
; %bb.61:                               ;   in Loop: Header=BB4_9 Depth=2
	v_cmp_lt_i32_e32 vcc, v15, v35
	s_mov_b64 s[40:41], 0
	v_mov_b32_e32 v13, v12
	s_branch .LBB4_63
.LBB4_62:                               ;   in Loop: Header=BB4_63 Depth=3
	s_or_b64 exec, exec, s[42:43]
	v_add_u32_e32 v13, s24, v13
	v_cmp_ge_i32_e64 s[4:5], v13, v33
	s_or_b64 s[40:41], s[4:5], s[40:41]
	s_andn2_b64 exec, exec, s[40:41]
	s_cbranch_execz .LBB4_71
.LBB4_63:                               ;   Parent Loop BB4_6 Depth=1
                                        ;     Parent Loop BB4_9 Depth=2
                                        ; =>    This Loop Header: Depth=3
                                        ;         Child Loop BB4_66 Depth 4
                                        ;           Child Loop BB4_69 Depth 5
	s_and_saveexec_b64 s[42:43], vcc
	s_cbranch_execz .LBB4_62
; %bb.64:                               ;   in Loop: Header=BB4_63 Depth=3
	s_waitcnt vmcnt(0)
	v_mul_lo_u32 v16, v13, s28
	v_ashrrev_i32_e32 v17, 31, v16
	v_lshl_add_u64 v[16:17], v[16:17], 2, s[10:11]
	v_mul_lo_u32 v22, v13, s15
	s_mov_b64 s[44:45], 0
	v_mov_b32_e32 v23, v15
	s_branch .LBB4_66
.LBB4_65:                               ;   in Loop: Header=BB4_66 Depth=4
	s_or_b64 exec, exec, s[46:47]
	v_add_u32_e32 v23, s25, v23
	v_cmp_ge_i32_e64 s[4:5], v23, v35
	s_or_b64 s[44:45], s[4:5], s[44:45]
	s_andn2_b64 exec, exec, s[44:45]
	s_cbranch_execz .LBB4_62
.LBB4_66:                               ;   Parent Loop BB4_6 Depth=1
                                        ;     Parent Loop BB4_9 Depth=2
                                        ;       Parent Loop BB4_63 Depth=3
                                        ; =>      This Loop Header: Depth=4
                                        ;           Child Loop BB4_69 Depth 5
	s_and_saveexec_b64 s[46:47], s[2:3]
	s_cbranch_execz .LBB4_65
; %bb.67:                               ;   in Loop: Header=BB4_66 Depth=4
	v_mul_lo_u32 v18, v23, s29
	v_ashrrev_i32_e32 v19, 31, v18
	v_lshl_add_u64 v[18:19], v[18:19], 2, v[16:17]
	v_add_u32_e32 v36, v23, v22
	s_mov_b64 s[48:49], 0
	v_mov_b32_e32 v37, v26
	v_mov_b32_e32 v20, v4
	;; [unrolled: 1-line block ×3, first 2 shown]
	s_branch .LBB4_69
.LBB4_68:                               ;   in Loop: Header=BB4_69 Depth=5
	s_or_b64 exec, exec, s[4:5]
	v_add_u32_e32 v38, s16, v38
	v_cmp_le_i32_e64 s[4:5], s13, v38
	v_add_u32_e32 v20, s60, v20
	s_or_b64 s[48:49], s[4:5], s[48:49]
	v_add_u32_e32 v37, s61, v37
	s_andn2_b64 exec, exec, s[48:49]
	s_cbranch_execz .LBB4_65
.LBB4_69:                               ;   Parent Loop BB4_6 Depth=1
                                        ;     Parent Loop BB4_9 Depth=2
                                        ;       Parent Loop BB4_63 Depth=3
                                        ;         Parent Loop BB4_66 Depth=4
                                        ; =>        This Inner Loop Header: Depth=5
	v_ashrrev_i32_e32 v21, 31, v20
	v_lshl_add_u64 v[40:41], v[20:21], 2, v[18:19]
	global_load_dword v21, v[40:41], off
	v_add_u32_e32 v39, v37, v30
	ds_read_b32 v40, v39
	s_waitcnt vmcnt(0) lgkmcnt(0)
	v_cmp_gt_f32_e64 s[4:5], v21, v40
	v_cmp_u_f32_e64 s[6:7], v21, v21
	s_or_b64 s[6:7], s[6:7], s[4:5]
	s_and_saveexec_b64 s[4:5], s[6:7]
	s_cbranch_execz .LBB4_68
; %bb.70:                               ;   in Loop: Header=BB4_69 Depth=5
	ds_write_b32 v39, v21
	v_add_u32_e32 v21, v37, v31
	ds_write_b32 v21, v36
	s_branch .LBB4_68
.LBB4_71:                               ;   in Loop: Header=BB4_9 Depth=2
	s_or_b64 exec, exec, s[8:9]
	s_and_saveexec_b64 s[4:5], s[2:3]
	s_cbranch_execz .LBB4_8
.LBB4_72:                               ;   in Loop: Header=BB4_9 Depth=2
	v_ashrrev_i32_e32 v15, 31, v14
	s_waitcnt vmcnt(0)
	v_lshl_add_u64 v[16:17], v[14:15], 2, v[8:9]
	v_lshl_add_u64 v[18:19], v[14:15], 3, v[10:11]
	s_mov_b64 s[6:7], 0
	v_mov_b32_e32 v13, v26
	v_mov_b32_e32 v15, v0
.LBB4_73:                               ;   Parent Loop BB4_6 Depth=1
                                        ;     Parent Loop BB4_9 Depth=2
                                        ; =>    This Inner Loop Header: Depth=3
	v_add_u32_e32 v21, v13, v30
	v_add_u32_e32 v22, v13, v31
	ds_read_b32 v23, v21
	ds_read_b32 v20, v22
	v_add_u32_e32 v15, s16, v15
	ds_write_b32 v21, v1
	ds_write_b32 v22, v29
	v_cmp_le_i32_e32 vcc, s13, v15
	v_add_u32_e32 v13, s61, v13
	s_waitcnt lgkmcnt(2)
	v_ashrrev_i32_e32 v21, 31, v20
	s_or_b64 s[6:7], vcc, s[6:7]
	global_store_dword v[16:17], v23, off
	v_lshl_add_u64 v[16:17], v[16:17], 0, s[26:27]
	global_store_dwordx2 v[18:19], v[20:21], off
	v_lshl_add_u64 v[18:19], v[18:19], 0, s[30:31]
	s_andn2_b64 exec, exec, s[6:7]
	s_cbranch_execnz .LBB4_73
	s_branch .LBB4_8
.LBB4_74:
	s_endpgm
	.section	.rodata,"a",@progbits
	.p2align	6, 0x0
	.amdhsa_kernel _ZN2at6native12_GLOBAL__N_121max_pool_forward_nhwcIfiEEvPKT_iT0_S6_S6_S6_S6_iiiiiiiiS6_S6_S6_S6_iiPS3_Pl
		.amdhsa_group_segment_fixed_size 0
		.amdhsa_private_segment_fixed_size 0
		.amdhsa_kernarg_size 360
		.amdhsa_user_sgpr_count 2
		.amdhsa_user_sgpr_dispatch_ptr 0
		.amdhsa_user_sgpr_queue_ptr 0
		.amdhsa_user_sgpr_kernarg_segment_ptr 1
		.amdhsa_user_sgpr_dispatch_id 0
		.amdhsa_user_sgpr_kernarg_preload_length 0
		.amdhsa_user_sgpr_kernarg_preload_offset 0
		.amdhsa_user_sgpr_private_segment_size 0
		.amdhsa_uses_dynamic_stack 0
		.amdhsa_enable_private_segment 0
		.amdhsa_system_sgpr_workgroup_id_x 1
		.amdhsa_system_sgpr_workgroup_id_y 1
		.amdhsa_system_sgpr_workgroup_id_z 1
		.amdhsa_system_sgpr_workgroup_info 0
		.amdhsa_system_vgpr_workitem_id 2
		.amdhsa_next_free_vgpr 50
		.amdhsa_next_free_sgpr 64
		.amdhsa_accum_offset 52
		.amdhsa_reserve_vcc 1
		.amdhsa_float_round_mode_32 0
		.amdhsa_float_round_mode_16_64 0
		.amdhsa_float_denorm_mode_32 3
		.amdhsa_float_denorm_mode_16_64 3
		.amdhsa_dx10_clamp 1
		.amdhsa_ieee_mode 1
		.amdhsa_fp16_overflow 0
		.amdhsa_tg_split 0
		.amdhsa_exception_fp_ieee_invalid_op 0
		.amdhsa_exception_fp_denorm_src 0
		.amdhsa_exception_fp_ieee_div_zero 0
		.amdhsa_exception_fp_ieee_overflow 0
		.amdhsa_exception_fp_ieee_underflow 0
		.amdhsa_exception_fp_ieee_inexact 0
		.amdhsa_exception_int_div_zero 0
	.end_amdhsa_kernel
	.section	.text._ZN2at6native12_GLOBAL__N_121max_pool_forward_nhwcIfiEEvPKT_iT0_S6_S6_S6_S6_iiiiiiiiS6_S6_S6_S6_iiPS3_Pl,"axG",@progbits,_ZN2at6native12_GLOBAL__N_121max_pool_forward_nhwcIfiEEvPKT_iT0_S6_S6_S6_S6_iiiiiiiiS6_S6_S6_S6_iiPS3_Pl,comdat
.Lfunc_end4:
	.size	_ZN2at6native12_GLOBAL__N_121max_pool_forward_nhwcIfiEEvPKT_iT0_S6_S6_S6_S6_iiiiiiiiS6_S6_S6_S6_iiPS3_Pl, .Lfunc_end4-_ZN2at6native12_GLOBAL__N_121max_pool_forward_nhwcIfiEEvPKT_iT0_S6_S6_S6_S6_iiiiiiiiS6_S6_S6_S6_iiPS3_Pl
                                        ; -- End function
	.set _ZN2at6native12_GLOBAL__N_121max_pool_forward_nhwcIfiEEvPKT_iT0_S6_S6_S6_S6_iiiiiiiiS6_S6_S6_S6_iiPS3_Pl.num_vgpr, 50
	.set _ZN2at6native12_GLOBAL__N_121max_pool_forward_nhwcIfiEEvPKT_iT0_S6_S6_S6_S6_iiiiiiiiS6_S6_S6_S6_iiPS3_Pl.num_agpr, 0
	.set _ZN2at6native12_GLOBAL__N_121max_pool_forward_nhwcIfiEEvPKT_iT0_S6_S6_S6_S6_iiiiiiiiS6_S6_S6_S6_iiPS3_Pl.numbered_sgpr, 64
	.set _ZN2at6native12_GLOBAL__N_121max_pool_forward_nhwcIfiEEvPKT_iT0_S6_S6_S6_S6_iiiiiiiiS6_S6_S6_S6_iiPS3_Pl.num_named_barrier, 0
	.set _ZN2at6native12_GLOBAL__N_121max_pool_forward_nhwcIfiEEvPKT_iT0_S6_S6_S6_S6_iiiiiiiiS6_S6_S6_S6_iiPS3_Pl.private_seg_size, 0
	.set _ZN2at6native12_GLOBAL__N_121max_pool_forward_nhwcIfiEEvPKT_iT0_S6_S6_S6_S6_iiiiiiiiS6_S6_S6_S6_iiPS3_Pl.uses_vcc, 1
	.set _ZN2at6native12_GLOBAL__N_121max_pool_forward_nhwcIfiEEvPKT_iT0_S6_S6_S6_S6_iiiiiiiiS6_S6_S6_S6_iiPS3_Pl.uses_flat_scratch, 0
	.set _ZN2at6native12_GLOBAL__N_121max_pool_forward_nhwcIfiEEvPKT_iT0_S6_S6_S6_S6_iiiiiiiiS6_S6_S6_S6_iiPS3_Pl.has_dyn_sized_stack, 0
	.set _ZN2at6native12_GLOBAL__N_121max_pool_forward_nhwcIfiEEvPKT_iT0_S6_S6_S6_S6_iiiiiiiiS6_S6_S6_S6_iiPS3_Pl.has_recursion, 0
	.set _ZN2at6native12_GLOBAL__N_121max_pool_forward_nhwcIfiEEvPKT_iT0_S6_S6_S6_S6_iiiiiiiiS6_S6_S6_S6_iiPS3_Pl.has_indirect_call, 0
	.section	.AMDGPU.csdata,"",@progbits
; Kernel info:
; codeLenInByte = 2872
; TotalNumSgprs: 70
; NumVgprs: 50
; NumAgprs: 0
; TotalNumVgprs: 50
; ScratchSize: 0
; MemoryBound: 0
; FloatMode: 240
; IeeeMode: 1
; LDSByteSize: 0 bytes/workgroup (compile time only)
; SGPRBlocks: 8
; VGPRBlocks: 6
; NumSGPRsForWavesPerEU: 70
; NumVGPRsForWavesPerEU: 50
; AccumOffset: 52
; Occupancy: 8
; WaveLimiterHint : 1
; COMPUTE_PGM_RSRC2:SCRATCH_EN: 0
; COMPUTE_PGM_RSRC2:USER_SGPR: 2
; COMPUTE_PGM_RSRC2:TRAP_HANDLER: 0
; COMPUTE_PGM_RSRC2:TGID_X_EN: 1
; COMPUTE_PGM_RSRC2:TGID_Y_EN: 1
; COMPUTE_PGM_RSRC2:TGID_Z_EN: 1
; COMPUTE_PGM_RSRC2:TIDIG_COMP_CNT: 2
; COMPUTE_PGM_RSRC3_GFX90A:ACCUM_OFFSET: 12
; COMPUTE_PGM_RSRC3_GFX90A:TG_SPLIT: 0
	.section	.text._ZN2at6native12_GLOBAL__N_121max_pool_forward_nhwcIflEEvPKT_iT0_S6_S6_S6_S6_iiiiiiiiS6_S6_S6_S6_iiPS3_Pl,"axG",@progbits,_ZN2at6native12_GLOBAL__N_121max_pool_forward_nhwcIflEEvPKT_iT0_S6_S6_S6_S6_iiiiiiiiS6_S6_S6_S6_iiPS3_Pl,comdat
	.globl	_ZN2at6native12_GLOBAL__N_121max_pool_forward_nhwcIflEEvPKT_iT0_S6_S6_S6_S6_iiiiiiiiS6_S6_S6_S6_iiPS3_Pl ; -- Begin function _ZN2at6native12_GLOBAL__N_121max_pool_forward_nhwcIflEEvPKT_iT0_S6_S6_S6_S6_iiiiiiiiS6_S6_S6_S6_iiPS3_Pl
	.p2align	8
	.type	_ZN2at6native12_GLOBAL__N_121max_pool_forward_nhwcIflEEvPKT_iT0_S6_S6_S6_S6_iiiiiiiiS6_S6_S6_S6_iiPS3_Pl,@function
_ZN2at6native12_GLOBAL__N_121max_pool_forward_nhwcIflEEvPKT_iT0_S6_S6_S6_S6_iiiiiiiiS6_S6_S6_S6_iiPS3_Pl: ; @_ZN2at6native12_GLOBAL__N_121max_pool_forward_nhwcIflEEvPKT_iT0_S6_S6_S6_S6_iiiiiiiiS6_S6_S6_S6_iiPS3_Pl
; %bb.0:
	s_load_dwordx4 s[8:11], s[0:1], 0x94
	s_load_dwordx2 s[6:7], s[0:1], 0x78
	v_bfe_u32 v2, v0, 10, 10
	v_bfe_u32 v3, v0, 20, 10
	v_and_b32_e32 v8, 0x3ff, v0
	s_waitcnt lgkmcnt(0)
	s_and_b32 s14, s10, 0xffff
	s_lshr_b32 s72, s10, 16
	s_mul_i32 s5, s7, s14
	s_and_b32 s33, s11, 0xffff
	s_mul_i32 s15, s5, s72
	v_mad_u32_u24 v9, v3, s72, v2
	s_mul_i32 s15, s15, s33
	v_mad_u64_u32 v[0:1], s[10:11], v9, s14, v[8:9]
	v_cmp_gt_u32_e32 vcc, s15, v0
	s_and_saveexec_b64 s[10:11], vcc
	s_cbranch_execz .LBB5_3
; %bb.1:
	s_mul_i32 s16, s72, s14
	s_lshl_b32 s12, s15, 3
	s_mul_i32 s16, s16, s33
	s_add_i32 s12, s12, 0
	v_mov_b32_e32 v6, 0
	v_lshl_add_u32 v1, v0, 2, s12
	s_lshl_b32 s17, s16, 2
	v_lshl_add_u32 v4, v0, 3, 0
	s_lshl_b32 s18, s16, 3
	s_mov_b64 s[12:13], 0
	v_mov_b32_e32 v5, 0xff800000
	v_mov_b32_e32 v7, v6
.LBB5_2:                                ; =>This Inner Loop Header: Depth=1
	v_add_u32_e32 v0, s16, v0
	v_cmp_le_u32_e32 vcc, s15, v0
	ds_write_b32 v1, v5
	ds_write_b64 v4, v[6:7]
	v_add_u32_e32 v1, s17, v1
	s_or_b64 s[12:13], vcc, s[12:13]
	v_add_u32_e32 v4, s18, v4
	s_andn2_b64 exec, exec, s[12:13]
	s_cbranch_execnz .LBB5_2
.LBB5_3:
	s_or_b64 exec, exec, s[10:11]
	v_cvt_f32_u32_e32 v0, s9
	s_load_dword s10, s[0:1], 0x8
	s_load_dwordx8 s[20:27], s[0:1], 0x10
	s_sub_i32 s11, 0, s9
	s_waitcnt lgkmcnt(0)
	v_rcp_iflag_f32_e32 v0, v0
	v_cvt_f32_u32_e32 v1, s10
	s_add_i32 s12, s26, s9
	s_add_i32 s12, s12, -1
	v_mul_f32_e32 v0, 0x4f7ffffe, v0
	v_cvt_u32_f32_e32 v0, v0
	v_rcp_iflag_f32_e32 v1, v1
	s_barrier
	v_readfirstlane_b32 s13, v0
	s_mul_i32 s16, s11, s13
	s_mul_hi_u32 s16, s13, s16
	v_cvt_f32_u32_e32 v0, s8
	s_add_i32 s13, s13, s16
	s_mul_hi_u32 s13, s12, s13
	s_mul_i32 s16, s13, s9
	s_sub_i32 s12, s12, s16
	v_rcp_iflag_f32_e32 v0, v0
	s_add_i32 s16, s13, 1
	s_sub_i32 s17, s12, s9
	s_cmp_ge_u32 s12, s9
	s_cselect_b32 s13, s16, s13
	s_cselect_b32 s12, s17, s12
	v_mul_f32_e32 v0, 0x4f7ffffe, v0
	s_add_i32 s16, s13, 1
	v_cvt_u32_f32_e32 v0, v0
	s_cmp_ge_u32 s12, s9
	v_mul_f32_e32 v1, 0x4f7ffffe, v1
	s_cselect_b32 s12, s16, s13
	v_cvt_u32_f32_e32 v1, v1
	s_mul_i32 s4, s12, s4
	v_add_u32_e32 v40, s4, v3
	v_readfirstlane_b32 s9, v0
	v_add_u32_e32 v0, s12, v40
	v_min_i32_e32 v41, s26, v0
	v_readfirstlane_b32 s11, v1
	v_cmp_lt_i32_e32 vcc, v40, v41
	s_and_saveexec_b64 s[12:13], vcc
	s_cbranch_execz .LBB5_78
; %bb.4:
	s_load_dwordx2 s[18:19], s[0:1], 0x30
	s_load_dwordx2 s[12:13], s[0:1], 0x0
	s_sub_i32 s4, 0, s10
	s_mul_i32 s4, s4, s11
	s_mul_hi_u32 s4, s11, s4
	s_add_i32 s11, s11, s4
	s_mul_hi_u32 s4, s2, s11
	s_waitcnt lgkmcnt(0)
	s_add_i32 s11, s18, s8
	s_add_i32 s16, s11, -1
	s_sub_i32 s11, 0, s8
	s_mul_i32 s11, s11, s9
	s_mul_hi_u32 s11, s9, s11
	s_add_i32 s9, s9, s11
	s_lshl_b32 s11, s15, 3
	s_add_i32 s15, s11, 0
	s_mul_i32 s11, s4, s10
	s_sub_i32 s11, s2, s11
	s_add_i32 s17, s4, 1
	s_sub_i32 s28, s11, s10
	s_cmp_ge_u32 s11, s10
	s_cselect_b32 s4, s17, s4
	s_cselect_b32 s11, s28, s11
	s_add_i32 s17, s4, 1
	s_load_dwordx8 s[36:43], s[0:1], 0x58
	s_cmp_ge_u32 s11, s10
	s_cselect_b32 s4, s17, s4
	s_mul_i32 s10, s4, s10
	s_sub_i32 s17, s2, s10
	s_ashr_i32 s58, s17, 31
	s_waitcnt lgkmcnt(0)
	s_mul_i32 s2, s36, s58
	s_mul_hi_u32 s10, s36, s17
	s_add_i32 s2, s10, s2
	s_mul_i32 s10, s37, s17
	s_add_i32 s11, s2, s10
	s_mul_i32 s10, s36, s17
	s_mul_hi_u32 s9, s16, s9
	s_lshl_b64 s[10:11], s[10:11], 2
	s_add_u32 s28, s12, s10
	s_mul_i32 s2, s9, s8
	s_addc_u32 s29, s13, s11
	s_sub_i32 s2, s16, s2
	v_mul_lo_u32 v0, s5, v9
	s_add_i32 s5, s9, 1
	s_sub_i32 s10, s2, s8
	s_cmp_ge_u32 s2, s8
	s_cselect_b32 s5, s5, s9
	s_load_dwordx8 s[44:51], s[0:1], 0x38
	s_cselect_b32 s2, s10, s2
	s_add_i32 s9, s5, 1
	s_cmp_ge_u32 s2, s8
	s_cselect_b32 s2, s9, s5
	s_load_dwordx4 s[8:11], s[0:1], 0x80
	s_mul_i32 s0, s2, s3
	v_add_u32_e32 v42, s0, v2
	v_lshlrev_b32_e32 v14, 2, v0
	v_lshlrev_b32_e32 v15, 3, v0
	v_add_u32_e32 v0, s2, v42
	s_waitcnt lgkmcnt(0)
	s_add_i32 s0, s44, -1
	s_add_i32 s2, s45, -1
	s_mul_i32 s0, s50, s0
	s_mul_i32 s2, s51, s2
	s_add_i32 s30, s0, 1
	s_add_i32 s34, s2, 1
	s_ashr_i32 s73, s48, 31
	s_ashr_i32 s31, s30, 31
	;; [unrolled: 1-line block ×6, first 2 shown]
	s_max_i32 s2, s44, s45
	s_mul_i32 s44, s6, s14
	s_cmp_lt_i32 s2, 4
	v_mov_b32_e32 v2, s44
	v_mov_b32_e32 v3, 0
	s_mov_b32 s36, s50
	s_cselect_b64 s[2:3], -1, 0
	v_cmp_le_i64_e32 vcc, s[20:21], v[2:3]
	v_mov_b32_e32 v10, s8
	v_mov_b32_e32 v11, s9
	;; [unrolled: 1-line block ×3, first 2 shown]
	s_and_b64 s[54:55], s[2:3], vcc
	s_ashr_i32 s10, s6, 31
	v_cmp_gt_u64_e64 s[8:9], s[36:37], 1
	s_and_b64 s[8:9], s[8:9], exec
	s_mul_i32 s4, s4, s14
	s_cselect_b32 s77, s37, 0
	s_cselect_b32 s78, s50, 1
	s_add_u32 s8, s49, s51
	v_min_i32_e32 v43, s18, v0
	v_add_u32_e32 v0, s4, v8
	s_addc_u32 s9, s75, s53
	v_ashrrev_i32_e32 v1, 31, v0
	s_sub_u32 s56, 0, s8
	v_mul_lo_u32 v2, s38, v1
	v_mul_lo_u32 v6, s39, v0
	v_mad_u64_u32 v[4:5], s[4:5], s38, v0, 0
	s_subb_u32 s57, 0, s9
	s_mul_hi_u32 s8, s38, s6
	s_mul_i32 s9, s38, s10
	v_add3_u32 v5, v5, v2, v6
	s_mul_hi_i32 s45, s14, s6
	v_lshlrev_b32_e32 v2, 2, v8
	s_add_i32 s8, s8, s9
	s_mul_i32 s9, s39, s6
	s_mul_i32 s6, s38, s6
	v_add3_u32 v44, s15, v14, v2
	s_add_i32 s8, s8, s9
	s_mul_hi_u32 s9, s6, s14
	s_mul_i32 s38, s6, s14
	s_mul_i32 s6, s72, s33
	v_lshlrev_b32_e32 v14, 2, v9
	v_lshl_add_u32 v14, s6, 3, v14
	v_mul_lo_u32 v14, s7, v14
	v_mul_lo_u32 v14, v14, s14
	s_mul_i32 s8, s8, s14
	v_add3_u32 v46, v14, v2, 0
	v_mul_lo_u32 v2, s7, v9
	s_mul_i32 s6, s18, s27
	s_mul_hi_u32 s7, s18, s26
	s_add_i32 s39, s9, s8
	s_add_i32 s6, s7, s6
	s_mul_i32 s7, s19, s26
	s_mul_i32 s8, s18, s26
	s_add_i32 s6, s6, s7
	s_mul_i32 s7, s8, s58
	s_mul_hi_u32 s9, s8, s17
	v_mul_lo_u32 v2, v2, s14
	s_add_i32 s7, s9, s7
	s_mul_i32 s6, s6, s17
	v_mov_b32_e32 v13, s11
	v_lshlrev_b32_e32 v8, 3, v8
	v_lshlrev_b32_e32 v2, 3, v2
	s_add_i32 s7, s7, s6
	s_mul_i32 s6, s8, s17
	s_mov_b32 s74, s48
	v_cmp_lt_i32_e64 s[0:1], v42, v43
	s_mov_b32 s76, s49
	s_mov_b32 s52, s51
	v_cmp_le_i64_e64 s[2:3], s[20:21], v[0:1]
	v_lshl_add_u64 v[6:7], v[4:5], 2, s[28:29]
	v_cmp_gt_i64_e64 s[4:5], s[20:21], v[0:1]
	v_add3_u32 v45, 0, v15, v8
	s_mov_b64 s[48:49], 0
	s_lshl_b32 s79, s14, 2
	v_add3_u32 v47, v2, v8, 0
	s_lshl_b32 s80, s14, 3
	v_lshl_add_u64 v[8:9], v[0:1], 3, v[12:13]
	s_lshl_b64 s[26:27], s[6:7], 3
	s_lshl_b64 s[58:59], s[44:45], 3
	v_lshl_add_u64 v[10:11], v[0:1], 2, v[10:11]
	s_lshl_b64 s[60:61], s[6:7], 2
	s_lshl_b64 s[62:63], s[44:45], 2
	v_mov_b32_e32 v48, 0xff800000
	v_mov_b32_e32 v60, v3
	;; [unrolled: 1-line block ×3, first 2 shown]
	s_branch .LBB5_6
.LBB5_5:                                ;   in Loop: Header=BB5_6 Depth=1
	s_or_b64 exec, exec, s[64:65]
	v_add_u32_e32 v40, s33, v40
	v_cmp_ge_i32_e32 vcc, v40, v41
	s_or_b64 s[48:49], vcc, s[48:49]
	s_andn2_b64 exec, exec, s[48:49]
	s_cbranch_execz .LBB5_78
.LBB5_6:                                ; =>This Loop Header: Depth=1
                                        ;     Child Loop BB5_9 Depth 2
                                        ;       Child Loop BB5_14 Depth 3
                                        ;       Child Loop BB5_67 Depth 3
                                        ;         Child Loop BB5_70 Depth 4
                                        ;           Child Loop BB5_73 Depth 5
                                        ;       Child Loop BB5_77 Depth 3
	s_and_saveexec_b64 s[64:65], s[0:1]
	s_cbranch_execz .LBB5_5
; %bb.7:                                ;   in Loop: Header=BB5_6 Depth=1
	v_ashrrev_i32_e32 v2, 31, v40
	v_mul_lo_u32 v14, s19, v40
	v_mul_lo_u32 v2, s18, v2
	v_mad_u64_u32 v[12:13], s[6:7], s18, v40, 0
	v_add3_u32 v13, v13, v2, v14
	v_mad_i64_i32 v[14:15], s[6:7], v40, s46, 0
	v_mov_b32_e32 v2, s73
	v_subrev_co_u32_e32 v14, vcc, s74, v14
	s_mov_b64 s[66:67], 0
	s_nop 0
	v_subb_co_u32_e32 v15, vcc, v15, v2, vcc
	v_lshl_add_u64 v[16:17], v[14:15], 0, s[30:31]
	v_mov_b32_e32 v2, s23
	v_cmp_gt_i64_e32 vcc, s[22:23], v[16:17]
	v_mov_b32_e32 v18, v42
	s_nop 0
	v_cndmask_b32_e32 v17, v2, v17, vcc
	v_mov_b32_e32 v2, s22
	v_cndmask_b32_e32 v16, v2, v16, vcc
	s_branch .LBB5_9
.LBB5_8:                                ;   in Loop: Header=BB5_9 Depth=2
	s_or_b64 exec, exec, s[6:7]
	v_add_u32_e32 v18, s72, v18
	v_cmp_ge_i32_e32 vcc, v18, v43
	s_or_b64 s[66:67], vcc, s[66:67]
	s_andn2_b64 exec, exec, s[66:67]
	s_cbranch_execz .LBB5_5
.LBB5_9:                                ;   Parent Loop BB5_6 Depth=1
                                        ; =>  This Loop Header: Depth=2
                                        ;       Child Loop BB5_14 Depth 3
                                        ;       Child Loop BB5_67 Depth 3
                                        ;         Child Loop BB5_70 Depth 4
                                        ;           Child Loop BB5_73 Depth 5
                                        ;       Child Loop BB5_77 Depth 3
	v_cmp_lt_i64_e32 vcc, 0, v[14:15]
	v_lshrrev_b32_e32 v2, 31, v15
	v_lshl_add_u64 v[20:21], v[14:15], 0, v[2:3]
	v_cndmask_b32_e32 v19, 0, v14, vcc
	v_cndmask_b32_e32 v22, 0, v15, vcc
	v_sub_co_u32_e32 v19, vcc, v19, v20
	s_nop 1
	v_subb_co_u32_e32 v20, vcc, v22, v21, vcc
	v_or_b32_e32 v23, s77, v20
	v_mov_b32_e32 v22, v3
	v_cmp_ne_u64_e32 vcc, 0, v[22:23]
                                        ; implicit-def: $vgpr22_vgpr23
	s_and_saveexec_b64 s[6:7], vcc
	s_xor_b64 s[8:9], exec, s[6:7]
	s_cbranch_execz .LBB5_11
; %bb.10:                               ;   in Loop: Header=BB5_9 Depth=2
	v_cvt_f32_u32_e32 v21, s78
	v_cvt_f32_u32_e32 v22, s77
	s_sub_u32 s10, 0, s78
	s_subb_u32 s11, 0, s77
	v_mov_b32_e32 v25, v3
	v_fmac_f32_e32 v21, 0x4f800000, v22
	v_rcp_f32_e32 v21, v21
	s_nop 0
	v_mul_f32_e32 v21, 0x5f7ffffc, v21
	v_mul_f32_e32 v22, 0x2f800000, v21
	v_trunc_f32_e32 v22, v22
	v_fmac_f32_e32 v21, 0xcf800000, v22
	v_cvt_u32_f32_e32 v22, v22
	v_cvt_u32_f32_e32 v21, v21
	v_readfirstlane_b32 s12, v22
	v_readfirstlane_b32 s6, v21
	s_mul_i32 s7, s10, s12
	s_mul_hi_u32 s14, s10, s6
	s_mul_i32 s13, s11, s6
	s_add_i32 s7, s14, s7
	s_mul_i32 s15, s10, s6
	s_add_i32 s7, s7, s13
	s_mul_i32 s14, s6, s7
	s_mul_hi_u32 s16, s6, s15
	s_mul_hi_u32 s13, s6, s7
	s_add_u32 s14, s16, s14
	s_addc_u32 s13, 0, s13
	s_mul_hi_u32 s17, s12, s15
	s_mul_i32 s15, s12, s15
	s_add_u32 s14, s14, s15
	s_mul_hi_u32 s16, s12, s7
	s_addc_u32 s13, s13, s17
	s_addc_u32 s14, s16, 0
	s_mul_i32 s7, s12, s7
	s_add_u32 s7, s13, s7
	s_addc_u32 s13, 0, s14
	s_add_u32 s14, s6, s7
	s_cselect_b64 s[6:7], -1, 0
	s_cmp_lg_u64 s[6:7], 0
	s_addc_u32 s12, s12, s13
	s_mul_i32 s6, s10, s12
	s_mul_hi_u32 s7, s10, s14
	s_add_i32 s6, s7, s6
	s_mul_i32 s11, s11, s14
	s_add_i32 s6, s6, s11
	s_mul_i32 s10, s10, s14
	s_mul_hi_u32 s11, s12, s10
	s_mul_i32 s13, s12, s10
	s_mul_i32 s16, s14, s6
	s_mul_hi_u32 s10, s14, s10
	s_mul_hi_u32 s15, s14, s6
	s_add_u32 s10, s10, s16
	s_addc_u32 s15, 0, s15
	s_add_u32 s10, s10, s13
	s_mul_hi_u32 s7, s12, s6
	s_addc_u32 s10, s15, s11
	s_addc_u32 s7, s7, 0
	s_mul_i32 s6, s12, s6
	s_add_u32 s6, s10, s6
	s_addc_u32 s10, 0, s7
	s_add_u32 s11, s14, s6
	s_cselect_b64 s[6:7], -1, 0
	s_cmp_lg_u64 s[6:7], 0
	s_addc_u32 s10, s12, s10
	v_mad_u64_u32 v[22:23], s[6:7], v19, s10, 0
	v_mul_hi_u32 v24, v19, s11
	v_lshl_add_u64 v[22:23], v[24:25], 0, v[22:23]
	v_mad_u64_u32 v[26:27], s[6:7], v20, s11, 0
	v_add_co_u32_e32 v21, vcc, v22, v26
	v_mad_u64_u32 v[24:25], s[6:7], v20, s10, 0
	s_nop 0
	v_addc_co_u32_e32 v22, vcc, v23, v27, vcc
	v_mov_b32_e32 v23, v3
	s_nop 0
	v_addc_co_u32_e32 v25, vcc, 0, v25, vcc
	v_lshl_add_u64 v[22:23], v[22:23], 0, v[24:25]
	v_mul_lo_u32 v21, s77, v22
	v_mul_lo_u32 v26, s78, v23
	v_mad_u64_u32 v[24:25], s[6:7], s78, v22, 0
	v_add3_u32 v21, v25, v26, v21
	v_sub_u32_e32 v25, v20, v21
	v_mov_b32_e32 v26, s77
	v_sub_co_u32_e32 v19, vcc, v19, v24
	s_nop 1
	v_subb_co_u32_e64 v24, s[6:7], v25, v26, vcc
	v_subrev_co_u32_e64 v25, s[6:7], s78, v19
	v_subb_co_u32_e32 v20, vcc, v20, v21, vcc
	s_nop 0
	v_subbrev_co_u32_e64 v24, s[6:7], 0, v24, s[6:7]
	v_cmp_le_u32_e64 s[6:7], s77, v24
	v_cmp_le_u32_e32 vcc, s77, v20
	s_nop 0
	v_cndmask_b32_e64 v26, 0, -1, s[6:7]
	v_cmp_le_u32_e64 s[6:7], s78, v25
	v_cndmask_b32_e64 v21, 0, -1, vcc
	v_cmp_le_u32_e32 vcc, s78, v19
	v_cndmask_b32_e64 v25, 0, -1, s[6:7]
	v_cmp_eq_u32_e64 s[6:7], s77, v24
	v_cndmask_b32_e64 v19, 0, -1, vcc
	v_cmp_eq_u32_e32 vcc, s77, v20
	v_cndmask_b32_e64 v28, v26, v25, s[6:7]
	v_lshl_add_u64 v[24:25], v[22:23], 0, 2
	v_lshl_add_u64 v[26:27], v[22:23], 0, 1
	v_cmp_ne_u32_e64 s[6:7], 0, v28
	v_cndmask_b32_e32 v19, v21, v19, vcc
	v_cmp_ne_u32_e32 vcc, 0, v19
	v_cndmask_b32_e64 v25, v27, v25, s[6:7]
	v_cndmask_b32_e64 v19, v26, v24, s[6:7]
	v_cndmask_b32_e32 v23, v23, v25, vcc
	v_cndmask_b32_e32 v22, v22, v19, vcc
                                        ; implicit-def: $vgpr19
.LBB5_11:                               ;   in Loop: Header=BB5_9 Depth=2
	s_andn2_saveexec_b64 s[6:7], s[8:9]
	s_cbranch_execz .LBB5_13
; %bb.12:                               ;   in Loop: Header=BB5_9 Depth=2
	v_cvt_f32_u32_e32 v20, s78
	s_sub_i32 s8, 0, s78
	v_mov_b32_e32 v23, v3
	v_rcp_iflag_f32_e32 v20, v20
	s_nop 0
	v_mul_f32_e32 v20, 0x4f7ffffe, v20
	v_cvt_u32_f32_e32 v20, v20
	v_mul_lo_u32 v21, s8, v20
	v_mul_hi_u32 v21, v20, v21
	v_add_u32_e32 v20, v20, v21
	v_mul_hi_u32 v20, v19, v20
	v_mul_lo_u32 v21, v20, s78
	v_sub_u32_e32 v19, v19, v21
	v_add_u32_e32 v22, 1, v20
	v_subrev_u32_e32 v21, s78, v19
	v_cmp_le_u32_e32 vcc, s78, v19
	s_nop 1
	v_cndmask_b32_e32 v19, v19, v21, vcc
	v_cndmask_b32_e32 v20, v20, v22, vcc
	v_add_u32_e32 v21, 1, v20
	v_cmp_le_u32_e32 vcc, s78, v19
	s_nop 1
	v_cndmask_b32_e32 v22, v20, v21, vcc
.LBB5_13:                               ;   in Loop: Header=BB5_9 Depth=2
	s_or_b64 exec, exec, s[6:7]
	v_mov_b64_e32 v[20:21], s[56:57]
	v_mad_i64_i32 v[24:25], s[6:7], s47, v18, 0
	v_mad_i64_i32 v[20:21], s[6:7], s47, v18, v[20:21]
	v_ashrrev_i32_e32 v19, 31, v18
	s_mov_b64 s[6:7], 0
.LBB5_14:                               ;   Parent Loop BB5_6 Depth=1
                                        ;     Parent Loop BB5_9 Depth=2
                                        ; =>    This Inner Loop Header: Depth=3
	v_lshl_add_u64 v[20:21], v[20:21], 0, s[52:53]
	v_cmp_lt_i64_e32 vcc, -1, v[20:21]
	s_or_b64 s[6:7], vcc, s[6:7]
	s_andn2_b64 exec, exec, s[6:7]
	s_cbranch_execnz .LBB5_14
; %bb.15:                               ;   in Loop: Header=BB5_9 Depth=2
	s_or_b64 exec, exec, s[6:7]
	v_mov_b32_e32 v26, s75
	v_subrev_co_u32_e32 v24, vcc, s76, v24
	s_nop 1
	v_subb_co_u32_e32 v25, vcc, v25, v26, vcc
	v_lshl_add_u64 v[24:25], v[24:25], 0, s[34:35]
	v_lshl_add_u64 v[26:27], v[2:3], 0, v[22:23]
	v_mov_b32_e32 v2, s25
	v_cmp_gt_i64_e32 vcc, s[24:25], v[24:25]
	v_mad_u64_u32 v[14:15], s[6:7], v26, s36, v[14:15]
	s_nop 0
	v_cndmask_b32_e32 v23, v2, v25, vcc
	v_mov_b32_e32 v2, s24
	v_cndmask_b32_e32 v22, v2, v24, vcc
	v_mul_lo_u32 v2, v26, s37
	v_mul_lo_u32 v24, v27, s36
	v_add3_u32 v15, v24, v15, v2
	s_mov_b64 s[6:7], -1
	s_and_b64 vcc, exec, s[54:55]
	s_cbranch_vccnz .LBB5_18
; %bb.16:                               ;   in Loop: Header=BB5_9 Depth=2
	s_and_b64 vcc, exec, s[6:7]
	s_cbranch_vccnz .LBB5_64
.LBB5_17:                               ;   in Loop: Header=BB5_9 Depth=2
	s_and_saveexec_b64 s[6:7], s[4:5]
	s_cbranch_execz .LBB5_8
	s_branch .LBB5_76
.LBB5_18:                               ;   in Loop: Header=BB5_9 Depth=2
	v_ashrrev_i32_e32 v31, 31, v14
	v_mul_lo_u32 v2, s41, v14
	v_mul_lo_u32 v26, s40, v31
	v_mad_u64_u32 v[24:25], s[6:7], s40, v14, 0
	v_add3_u32 v25, v25, v26, v2
	v_mov_b32_e32 v30, v14
	v_lshl_add_u64 v[32:33], v[24:25], 2, v[6:7]
	v_ashrrev_i32_e32 v25, 31, v20
	v_mov_b32_e32 v24, v20
	v_cmp_le_i64_e32 vcc, v[16:17], v[30:31]
	v_cmp_le_i64_e64 s[10:11], v[22:23], v[24:25]
	s_or_b64 s[6:7], vcc, s[10:11]
	s_nor_b64 s[8:9], s[6:7], s[2:3]
	v_mov_b32_e32 v2, 0
	v_mul_lo_u32 v51, s43, v24
	v_mul_lo_u32 v55, s42, v25
	v_mov_b32_e32 v50, 0
	s_and_saveexec_b64 s[6:7], s[8:9]
	s_cbranch_execz .LBB5_20
; %bb.19:                               ;   in Loop: Header=BB5_9 Depth=2
	v_mad_u64_u32 v[26:27], s[8:9], s42, v24, 0
	v_add3_u32 v27, v27, v55, v51
	v_lshl_add_u64 v[26:27], v[26:27], 2, v[32:33]
	global_load_dword v50, v[26:27], off
.LBB5_20:                               ;   in Loop: Header=BB5_9 Depth=2
	s_or_b64 exec, exec, s[6:7]
	v_add_u32_e32 v26, s51, v20
	v_ashrrev_i32_e32 v27, 31, v26
	v_cmp_le_i64_e64 s[12:13], v[22:23], v[26:27]
	s_or_b64 s[6:7], vcc, s[12:13]
	s_nor_b64 s[8:9], s[6:7], s[2:3]
	v_mul_lo_u32 v56, s43, v26
	v_mul_lo_u32 v57, s42, v27
	s_and_saveexec_b64 s[6:7], s[8:9]
	s_cbranch_execz .LBB5_22
; %bb.21:                               ;   in Loop: Header=BB5_9 Depth=2
	v_mad_u64_u32 v[28:29], s[8:9], s42, v26, 0
	v_add3_u32 v29, v29, v57, v56
	v_lshl_add_u64 v[28:29], v[28:29], 2, v[32:33]
	global_load_dword v2, v[28:29], off
.LBB5_22:                               ;   in Loop: Header=BB5_9 Depth=2
	s_or_b64 exec, exec, s[6:7]
	v_add_u32_e32 v28, s51, v26
	v_ashrrev_i32_e32 v29, 31, v28
	v_cmp_le_i64_e64 s[14:15], v[22:23], v[28:29]
	s_or_b64 s[6:7], vcc, s[14:15]
	s_nor_b64 s[8:9], s[6:7], s[2:3]
	v_mov_b32_e32 v38, 0
	v_mul_lo_u32 v58, s43, v28
	v_mul_lo_u32 v59, s42, v29
	v_mov_b32_e32 v52, 0
	s_and_saveexec_b64 s[6:7], s[8:9]
	s_cbranch_execz .LBB5_24
; %bb.23:                               ;   in Loop: Header=BB5_9 Depth=2
	v_mad_u64_u32 v[34:35], s[8:9], s42, v28, 0
	v_add3_u32 v35, v35, v59, v58
	v_lshl_add_u64 v[32:33], v[34:35], 2, v[32:33]
	global_load_dword v52, v[32:33], off
.LBB5_24:                               ;   in Loop: Header=BB5_9 Depth=2
	s_or_b64 exec, exec, s[6:7]
	v_add_u32_e32 v34, s50, v14
	v_ashrrev_i32_e32 v35, 31, v34
	v_mul_lo_u32 v36, s40, v35
	v_mul_lo_u32 v37, s41, v34
	v_mad_u64_u32 v[32:33], s[6:7], s40, v34, 0
	v_cmp_le_i64_e64 s[8:9], v[16:17], v[34:35]
	v_add3_u32 v33, v33, v36, v37
	s_or_b64 s[6:7], s[8:9], s[10:11]
	v_lshl_add_u64 v[32:33], v[32:33], 2, v[6:7]
	s_nor_b64 s[16:17], s[6:7], s[2:3]
	s_and_saveexec_b64 s[6:7], s[16:17]
	s_cbranch_execz .LBB5_26
; %bb.25:                               ;   in Loop: Header=BB5_9 Depth=2
	v_mad_u64_u32 v[36:37], s[16:17], s42, v24, 0
	v_add3_u32 v37, v37, v55, v51
	v_lshl_add_u64 v[36:37], v[36:37], 2, v[32:33]
	global_load_dword v38, v[36:37], off
.LBB5_26:                               ;   in Loop: Header=BB5_9 Depth=2
	s_or_b64 exec, exec, s[6:7]
	s_or_b64 s[6:7], s[8:9], s[12:13]
	s_nor_b64 s[16:17], s[6:7], s[2:3]
	v_mov_b32_e32 v39, 0
	v_mov_b32_e32 v53, 0
	s_and_saveexec_b64 s[6:7], s[16:17]
	s_cbranch_execz .LBB5_28
; %bb.27:                               ;   in Loop: Header=BB5_9 Depth=2
	v_mad_u64_u32 v[36:37], s[16:17], s42, v26, 0
	v_add3_u32 v37, v37, v57, v56
	v_lshl_add_u64 v[36:37], v[36:37], 2, v[32:33]
	global_load_dword v53, v[36:37], off
.LBB5_28:                               ;   in Loop: Header=BB5_9 Depth=2
	s_or_b64 exec, exec, s[6:7]
	s_or_b64 s[6:7], s[8:9], s[14:15]
	s_nor_b64 s[16:17], s[6:7], s[2:3]
	s_and_saveexec_b64 s[6:7], s[16:17]
	s_cbranch_execz .LBB5_30
; %bb.29:                               ;   in Loop: Header=BB5_9 Depth=2
	v_mad_u64_u32 v[36:37], s[16:17], s42, v28, 0
	v_add3_u32 v37, v37, v59, v58
	v_lshl_add_u64 v[32:33], v[36:37], 2, v[32:33]
	global_load_dword v39, v[32:33], off
.LBB5_30:                               ;   in Loop: Header=BB5_9 Depth=2
	s_or_b64 exec, exec, s[6:7]
	v_add_u32_e32 v32, s50, v34
	v_ashrrev_i32_e32 v33, 31, v32
	v_mad_u64_u32 v[36:37], s[6:7], s40, v32, 0
	v_mul_lo_u32 v49, s40, v33
	v_mul_lo_u32 v54, s41, v32
	v_cmp_le_i64_e64 s[6:7], v[16:17], v[32:33]
	v_add3_u32 v37, v37, v49, v54
	s_or_b64 s[16:17], s[6:7], s[10:11]
	v_lshl_add_u64 v[36:37], v[36:37], 2, v[6:7]
	s_nor_b64 s[68:69], s[16:17], s[2:3]
	v_mov_b32_e32 v49, 0
	v_mov_b32_e32 v54, 0
	s_and_saveexec_b64 s[16:17], s[68:69]
	s_cbranch_execz .LBB5_32
; %bb.31:                               ;   in Loop: Header=BB5_9 Depth=2
	v_mad_u64_u32 v[62:63], s[68:69], s42, v24, 0
	v_add3_u32 v63, v63, v55, v51
	v_lshl_add_u64 v[54:55], v[62:63], 2, v[36:37]
	global_load_dword v54, v[54:55], off
.LBB5_32:                               ;   in Loop: Header=BB5_9 Depth=2
	s_or_b64 exec, exec, s[16:17]
	s_or_b64 s[16:17], s[6:7], s[12:13]
	s_nor_b64 s[68:69], s[16:17], s[2:3]
	s_and_saveexec_b64 s[16:17], s[68:69]
	s_cbranch_execz .LBB5_34
; %bb.33:                               ;   in Loop: Header=BB5_9 Depth=2
	v_mad_u64_u32 v[62:63], s[68:69], s42, v26, 0
	v_add3_u32 v63, v63, v57, v56
	v_lshl_add_u64 v[56:57], v[62:63], 2, v[36:37]
	global_load_dword v49, v[56:57], off
.LBB5_34:                               ;   in Loop: Header=BB5_9 Depth=2
	s_or_b64 exec, exec, s[16:17]
	s_or_b64 s[16:17], s[6:7], s[14:15]
	s_nor_b64 s[68:69], s[16:17], s[2:3]
	v_mov_b32_e32 v51, 0
	s_and_saveexec_b64 s[16:17], s[68:69]
	s_cbranch_execz .LBB5_36
; %bb.35:                               ;   in Loop: Header=BB5_9 Depth=2
	v_mad_u64_u32 v[56:57], s[68:69], s42, v28, 0
	v_add3_u32 v57, v57, v59, v58
	v_lshl_add_u64 v[36:37], v[56:57], 2, v[36:37]
	global_load_dword v51, v[36:37], off
.LBB5_36:                               ;   in Loop: Header=BB5_9 Depth=2
	s_or_b64 exec, exec, s[16:17]
	v_mul_lo_u32 v36, s25, v30
	v_mul_lo_u32 v37, s24, v31
	v_mad_u64_u32 v[30:31], s[16:17], s24, v30, 0
	s_or_b64 s[68:69], s[2:3], s[10:11]
	v_add3_u32 v31, v31, v37, v36
	s_nor_b64 s[10:11], vcc, s[68:69]
	s_and_saveexec_b64 s[70:71], s[10:11]
	s_cbranch_execz .LBB5_39
; %bb.37:                               ;   in Loop: Header=BB5_9 Depth=2
	ds_read_b32 v36, v44
	s_waitcnt vmcnt(0)
	v_cmp_u_f32_e64 s[16:17], v50, v50
	s_waitcnt lgkmcnt(0)
	v_cmp_gt_f32_e64 s[10:11], v50, v36
	s_or_b64 s[10:11], s[16:17], s[10:11]
	s_and_b64 exec, exec, s[10:11]
	s_cbranch_execz .LBB5_39
; %bb.38:                               ;   in Loop: Header=BB5_9 Depth=2
	v_lshl_add_u64 v[36:37], v[30:31], 0, v[24:25]
	ds_write_b32 v44, v50
	ds_write_b64 v45, v[36:37]
.LBB5_39:                               ;   in Loop: Header=BB5_9 Depth=2
	s_or_b64 exec, exec, s[70:71]
	s_or_b64 s[16:17], s[2:3], s[12:13]
	s_nor_b64 s[10:11], vcc, s[16:17]
	s_and_saveexec_b64 s[70:71], s[10:11]
	s_cbranch_execz .LBB5_42
; %bb.40:                               ;   in Loop: Header=BB5_9 Depth=2
	ds_read_b32 v36, v44
	s_waitcnt vmcnt(0)
	v_cmp_u_f32_e64 s[12:13], v2, v2
	s_waitcnt lgkmcnt(0)
	v_cmp_gt_f32_e64 s[10:11], v2, v36
	s_or_b64 s[10:11], s[12:13], s[10:11]
	s_and_b64 exec, exec, s[10:11]
	s_cbranch_execz .LBB5_42
; %bb.41:                               ;   in Loop: Header=BB5_9 Depth=2
	v_lshl_add_u64 v[36:37], v[30:31], 0, v[26:27]
	ds_write_b32 v44, v2
	ds_write_b64 v45, v[36:37]
.LBB5_42:                               ;   in Loop: Header=BB5_9 Depth=2
	s_or_b64 exec, exec, s[70:71]
	s_or_b64 s[12:13], s[2:3], s[14:15]
	s_nor_b64 s[10:11], vcc, s[12:13]
	s_and_saveexec_b64 s[14:15], s[10:11]
	s_cbranch_execz .LBB5_45
; %bb.43:                               ;   in Loop: Header=BB5_9 Depth=2
	s_waitcnt vmcnt(0)
	ds_read_b32 v2, v44
	v_cmp_u_f32_e64 s[10:11], v52, v52
	s_waitcnt lgkmcnt(0)
	v_cmp_gt_f32_e32 vcc, v52, v2
	s_or_b64 s[10:11], s[10:11], vcc
	s_and_b64 exec, exec, s[10:11]
	s_cbranch_execz .LBB5_45
; %bb.44:                               ;   in Loop: Header=BB5_9 Depth=2
	v_lshl_add_u64 v[30:31], v[30:31], 0, v[28:29]
	ds_write_b32 v44, v52
	ds_write_b64 v45, v[30:31]
.LBB5_45:                               ;   in Loop: Header=BB5_9 Depth=2
	s_or_b64 exec, exec, s[14:15]
	s_waitcnt vmcnt(0)
	v_mul_lo_u32 v2, s25, v34
	v_mul_lo_u32 v35, s24, v35
	v_mad_u64_u32 v[30:31], s[10:11], s24, v34, 0
	v_add3_u32 v31, v31, v35, v2
	s_nor_b64 s[10:11], s[8:9], s[68:69]
	s_and_saveexec_b64 s[14:15], s[10:11]
	s_cbranch_execz .LBB5_48
; %bb.46:                               ;   in Loop: Header=BB5_9 Depth=2
	ds_read_b32 v2, v44
	v_cmp_u_f32_e64 s[10:11], v38, v38
	s_waitcnt lgkmcnt(0)
	v_cmp_gt_f32_e32 vcc, v38, v2
	s_or_b64 s[10:11], s[10:11], vcc
	s_and_b64 exec, exec, s[10:11]
	s_cbranch_execz .LBB5_48
; %bb.47:                               ;   in Loop: Header=BB5_9 Depth=2
	v_lshl_add_u64 v[34:35], v[30:31], 0, v[24:25]
	ds_write_b32 v44, v38
	ds_write_b64 v45, v[34:35]
.LBB5_48:                               ;   in Loop: Header=BB5_9 Depth=2
	s_or_b64 exec, exec, s[14:15]
	s_nor_b64 s[10:11], s[8:9], s[16:17]
	s_and_saveexec_b64 s[14:15], s[10:11]
	s_cbranch_execz .LBB5_51
; %bb.49:                               ;   in Loop: Header=BB5_9 Depth=2
	ds_read_b32 v2, v44
	v_cmp_u_f32_e64 s[10:11], v53, v53
	s_waitcnt lgkmcnt(0)
	v_cmp_gt_f32_e32 vcc, v53, v2
	s_or_b64 s[10:11], s[10:11], vcc
	s_and_b64 exec, exec, s[10:11]
	s_cbranch_execz .LBB5_51
; %bb.50:                               ;   in Loop: Header=BB5_9 Depth=2
	v_lshl_add_u64 v[34:35], v[30:31], 0, v[26:27]
	ds_write_b32 v44, v53
	ds_write_b64 v45, v[34:35]
.LBB5_51:                               ;   in Loop: Header=BB5_9 Depth=2
	s_or_b64 exec, exec, s[14:15]
	s_nor_b64 s[8:9], s[8:9], s[12:13]
	s_and_saveexec_b64 s[10:11], s[8:9]
	s_cbranch_execz .LBB5_54
; %bb.52:                               ;   in Loop: Header=BB5_9 Depth=2
	ds_read_b32 v2, v44
	v_cmp_u_f32_e64 s[8:9], v39, v39
	s_waitcnt lgkmcnt(0)
	v_cmp_gt_f32_e32 vcc, v39, v2
	s_or_b64 s[8:9], s[8:9], vcc
	s_and_b64 exec, exec, s[8:9]
	s_cbranch_execz .LBB5_54
; %bb.53:                               ;   in Loop: Header=BB5_9 Depth=2
	v_lshl_add_u64 v[30:31], v[30:31], 0, v[28:29]
	ds_write_b32 v44, v39
	ds_write_b64 v45, v[30:31]
.LBB5_54:                               ;   in Loop: Header=BB5_9 Depth=2
	s_or_b64 exec, exec, s[10:11]
	v_mul_lo_u32 v2, s25, v32
	v_mul_lo_u32 v33, s24, v33
	v_mad_u64_u32 v[30:31], s[8:9], s24, v32, 0
	v_add3_u32 v31, v31, v33, v2
	s_nor_b64 s[8:9], s[6:7], s[68:69]
	s_and_saveexec_b64 s[10:11], s[8:9]
	s_cbranch_execz .LBB5_57
; %bb.55:                               ;   in Loop: Header=BB5_9 Depth=2
	ds_read_b32 v2, v44
	v_cmp_u_f32_e64 s[8:9], v54, v54
	s_waitcnt lgkmcnt(0)
	v_cmp_gt_f32_e32 vcc, v54, v2
	s_or_b64 s[8:9], s[8:9], vcc
	s_and_b64 exec, exec, s[8:9]
	s_cbranch_execz .LBB5_57
; %bb.56:                               ;   in Loop: Header=BB5_9 Depth=2
	v_lshl_add_u64 v[24:25], v[30:31], 0, v[24:25]
	ds_write_b32 v44, v54
	ds_write_b64 v45, v[24:25]
.LBB5_57:                               ;   in Loop: Header=BB5_9 Depth=2
	s_or_b64 exec, exec, s[10:11]
	s_nor_b64 s[8:9], s[6:7], s[16:17]
	s_and_saveexec_b64 s[10:11], s[8:9]
	s_cbranch_execz .LBB5_60
; %bb.58:                               ;   in Loop: Header=BB5_9 Depth=2
	ds_read_b32 v2, v44
	v_cmp_u_f32_e64 s[8:9], v49, v49
	s_waitcnt lgkmcnt(0)
	v_cmp_gt_f32_e32 vcc, v49, v2
	s_or_b64 s[8:9], s[8:9], vcc
	s_and_b64 exec, exec, s[8:9]
	s_cbranch_execz .LBB5_60
; %bb.59:                               ;   in Loop: Header=BB5_9 Depth=2
	v_lshl_add_u64 v[24:25], v[30:31], 0, v[26:27]
	ds_write_b32 v44, v49
	ds_write_b64 v45, v[24:25]
.LBB5_60:                               ;   in Loop: Header=BB5_9 Depth=2
	s_or_b64 exec, exec, s[10:11]
	;; [unrolled: 17-line block ×3, first 2 shown]
	s_branch .LBB5_17
.LBB5_64:                               ;   in Loop: Header=BB5_9 Depth=2
	v_cmp_lt_i64_e32 vcc, v[14:15], v[16:17]
	s_and_saveexec_b64 s[10:11], vcc
	s_cbranch_execz .LBB5_75
; %bb.65:                               ;   in Loop: Header=BB5_9 Depth=2
	v_cmp_lt_i64_e32 vcc, v[20:21], v[22:23]
	s_mov_b64 s[12:13], 0
	v_mov_b64_e32 v[24:25], v[14:15]
	s_branch .LBB5_67
.LBB5_66:                               ;   in Loop: Header=BB5_67 Depth=3
	s_or_b64 exec, exec, s[14:15]
	v_lshl_add_u64 v[24:25], v[24:25], 0, s[36:37]
	v_cmp_ge_i64_e64 s[6:7], v[24:25], v[16:17]
	s_or_b64 s[12:13], s[6:7], s[12:13]
	s_andn2_b64 exec, exec, s[12:13]
	s_cbranch_execz .LBB5_75
.LBB5_67:                               ;   Parent Loop BB5_6 Depth=1
                                        ;     Parent Loop BB5_9 Depth=2
                                        ; =>    This Loop Header: Depth=3
                                        ;         Child Loop BB5_70 Depth 4
                                        ;           Child Loop BB5_73 Depth 5
	s_and_saveexec_b64 s[14:15], vcc
	s_cbranch_execz .LBB5_66
; %bb.68:                               ;   in Loop: Header=BB5_67 Depth=3
	v_mul_lo_u32 v2, v25, s40
	v_mul_lo_u32 v28, v24, s41
	v_mad_u64_u32 v[26:27], s[6:7], v24, s40, 0
	v_add3_u32 v27, v27, v28, v2
	v_mul_lo_u32 v2, v25, s24
	v_mul_lo_u32 v30, v24, s25
	v_mad_u64_u32 v[28:29], s[6:7], v24, s24, 0
	v_lshl_add_u64 v[26:27], v[26:27], 2, s[28:29]
	v_add3_u32 v29, v29, v30, v2
	s_mov_b64 s[16:17], 0
	v_mov_b64_e32 v[30:31], v[20:21]
	s_branch .LBB5_70
.LBB5_69:                               ;   in Loop: Header=BB5_70 Depth=4
	s_or_b64 exec, exec, s[68:69]
	v_lshl_add_u64 v[30:31], v[30:31], 0, s[52:53]
	v_cmp_ge_i64_e64 s[6:7], v[30:31], v[22:23]
	s_or_b64 s[16:17], s[6:7], s[16:17]
	s_andn2_b64 exec, exec, s[16:17]
	s_cbranch_execz .LBB5_66
.LBB5_70:                               ;   Parent Loop BB5_6 Depth=1
                                        ;     Parent Loop BB5_9 Depth=2
                                        ;       Parent Loop BB5_67 Depth=3
                                        ; =>      This Loop Header: Depth=4
                                        ;           Child Loop BB5_73 Depth 5
	s_and_saveexec_b64 s[68:69], s[4:5]
	s_cbranch_execz .LBB5_69
; %bb.71:                               ;   in Loop: Header=BB5_70 Depth=4
	v_mul_lo_u32 v2, v31, s42
	v_mul_lo_u32 v34, v30, s43
	v_mad_u64_u32 v[32:33], s[6:7], v30, s42, 0
	v_add3_u32 v33, v33, v34, v2
	v_lshl_add_u64 v[32:33], v[32:33], 2, v[26:27]
	v_lshl_add_u64 v[34:35], v[30:31], 0, v[28:29]
	s_mov_b64 s[70:71], 0
	v_mov_b32_e32 v2, v47
	v_mov_b32_e32 v49, v46
	v_mov_b64_e32 v[36:37], v[4:5]
	v_mov_b64_e32 v[38:39], v[0:1]
	s_branch .LBB5_73
.LBB5_72:                               ;   in Loop: Header=BB5_73 Depth=5
	s_or_b64 exec, exec, s[6:7]
	v_lshl_add_u64 v[38:39], v[38:39], 0, s[44:45]
	v_cmp_le_i64_e64 s[6:7], s[20:21], v[38:39]
	v_lshl_add_u64 v[36:37], v[36:37], 0, s[38:39]
	v_add_u32_e32 v49, s79, v49
	s_or_b64 s[70:71], s[6:7], s[70:71]
	v_add_u32_e32 v2, s80, v2
	s_andn2_b64 exec, exec, s[70:71]
	s_cbranch_execz .LBB5_69
.LBB5_73:                               ;   Parent Loop BB5_6 Depth=1
                                        ;     Parent Loop BB5_9 Depth=2
                                        ;       Parent Loop BB5_67 Depth=3
                                        ;         Parent Loop BB5_70 Depth=4
                                        ; =>        This Inner Loop Header: Depth=5
	v_lshl_add_u64 v[50:51], v[36:37], 2, v[32:33]
	global_load_dword v50, v[50:51], off
	ds_read_b32 v51, v49
	s_waitcnt vmcnt(0) lgkmcnt(0)
	v_cmp_gt_f32_e64 s[6:7], v50, v51
	v_cmp_u_f32_e64 s[8:9], v50, v50
	s_or_b64 s[8:9], s[8:9], s[6:7]
	s_and_saveexec_b64 s[6:7], s[8:9]
	s_cbranch_execz .LBB5_72
; %bb.74:                               ;   in Loop: Header=BB5_73 Depth=5
	ds_write_b32 v49, v50
	ds_write_b64 v2, v[34:35]
	s_branch .LBB5_72
.LBB5_75:                               ;   in Loop: Header=BB5_9 Depth=2
	s_or_b64 exec, exec, s[10:11]
	s_and_saveexec_b64 s[6:7], s[4:5]
	s_cbranch_execz .LBB5_8
.LBB5_76:                               ;   in Loop: Header=BB5_9 Depth=2
	v_lshl_add_u64 v[22:23], v[12:13], 0, v[18:19]
	v_lshl_add_u64 v[20:21], v[22:23], 3, s[26:27]
	v_mul_lo_u32 v2, s20, v21
	v_mul_lo_u32 v19, s21, v20
	v_mad_u64_u32 v[20:21], s[8:9], s20, v20, v[8:9]
	v_lshl_add_u64 v[22:23], v[22:23], 2, s[60:61]
	v_add3_u32 v21, v19, v21, v2
	v_mul_lo_u32 v2, s20, v23
	v_mul_lo_u32 v19, s21, v22
	v_mad_u64_u32 v[22:23], s[8:9], s20, v22, v[10:11]
	v_add3_u32 v23, v19, v23, v2
	s_mov_b64 s[8:9], 0
	v_mov_b32_e32 v2, v47
	v_mov_b32_e32 v19, v46
	v_mov_b64_e32 v[24:25], v[0:1]
.LBB5_77:                               ;   Parent Loop BB5_6 Depth=1
                                        ;     Parent Loop BB5_9 Depth=2
                                        ; =>    This Inner Loop Header: Depth=3
	ds_read_b32 v28, v19
	ds_read_b64 v[26:27], v2
	v_lshl_add_u64 v[24:25], v[24:25], 0, s[44:45]
	v_cmp_le_i64_e32 vcc, s[20:21], v[24:25]
	ds_write_b32 v19, v48
	ds_write_b64 v2, v[60:61]
	v_add_u32_e32 v19, s79, v19
	v_add_u32_e32 v2, s80, v2
	s_or_b64 s[8:9], vcc, s[8:9]
	s_waitcnt lgkmcnt(3)
	global_store_dword v[22:23], v28, off
	s_waitcnt lgkmcnt(2)
	global_store_dwordx2 v[20:21], v[26:27], off
	v_lshl_add_u64 v[20:21], v[20:21], 0, s[58:59]
	v_lshl_add_u64 v[22:23], v[22:23], 0, s[62:63]
	s_andn2_b64 exec, exec, s[8:9]
	s_cbranch_execnz .LBB5_77
	s_branch .LBB5_8
.LBB5_78:
	s_endpgm
	.section	.rodata,"a",@progbits
	.p2align	6, 0x0
	.amdhsa_kernel _ZN2at6native12_GLOBAL__N_121max_pool_forward_nhwcIflEEvPKT_iT0_S6_S6_S6_S6_iiiiiiiiS6_S6_S6_S6_iiPS3_Pl
		.amdhsa_group_segment_fixed_size 0
		.amdhsa_private_segment_fixed_size 0
		.amdhsa_kernarg_size 400
		.amdhsa_user_sgpr_count 2
		.amdhsa_user_sgpr_dispatch_ptr 0
		.amdhsa_user_sgpr_queue_ptr 0
		.amdhsa_user_sgpr_kernarg_segment_ptr 1
		.amdhsa_user_sgpr_dispatch_id 0
		.amdhsa_user_sgpr_kernarg_preload_length 0
		.amdhsa_user_sgpr_kernarg_preload_offset 0
		.amdhsa_user_sgpr_private_segment_size 0
		.amdhsa_uses_dynamic_stack 0
		.amdhsa_enable_private_segment 0
		.amdhsa_system_sgpr_workgroup_id_x 1
		.amdhsa_system_sgpr_workgroup_id_y 1
		.amdhsa_system_sgpr_workgroup_id_z 1
		.amdhsa_system_sgpr_workgroup_info 0
		.amdhsa_system_vgpr_workitem_id 2
		.amdhsa_next_free_vgpr 64
		.amdhsa_next_free_sgpr 81
		.amdhsa_accum_offset 64
		.amdhsa_reserve_vcc 1
		.amdhsa_float_round_mode_32 0
		.amdhsa_float_round_mode_16_64 0
		.amdhsa_float_denorm_mode_32 3
		.amdhsa_float_denorm_mode_16_64 3
		.amdhsa_dx10_clamp 1
		.amdhsa_ieee_mode 1
		.amdhsa_fp16_overflow 0
		.amdhsa_tg_split 0
		.amdhsa_exception_fp_ieee_invalid_op 0
		.amdhsa_exception_fp_denorm_src 0
		.amdhsa_exception_fp_ieee_div_zero 0
		.amdhsa_exception_fp_ieee_overflow 0
		.amdhsa_exception_fp_ieee_underflow 0
		.amdhsa_exception_fp_ieee_inexact 0
		.amdhsa_exception_int_div_zero 0
	.end_amdhsa_kernel
	.section	.text._ZN2at6native12_GLOBAL__N_121max_pool_forward_nhwcIflEEvPKT_iT0_S6_S6_S6_S6_iiiiiiiiS6_S6_S6_S6_iiPS3_Pl,"axG",@progbits,_ZN2at6native12_GLOBAL__N_121max_pool_forward_nhwcIflEEvPKT_iT0_S6_S6_S6_S6_iiiiiiiiS6_S6_S6_S6_iiPS3_Pl,comdat
.Lfunc_end5:
	.size	_ZN2at6native12_GLOBAL__N_121max_pool_forward_nhwcIflEEvPKT_iT0_S6_S6_S6_S6_iiiiiiiiS6_S6_S6_S6_iiPS3_Pl, .Lfunc_end5-_ZN2at6native12_GLOBAL__N_121max_pool_forward_nhwcIflEEvPKT_iT0_S6_S6_S6_S6_iiiiiiiiS6_S6_S6_S6_iiPS3_Pl
                                        ; -- End function
	.set _ZN2at6native12_GLOBAL__N_121max_pool_forward_nhwcIflEEvPKT_iT0_S6_S6_S6_S6_iiiiiiiiS6_S6_S6_S6_iiPS3_Pl.num_vgpr, 64
	.set _ZN2at6native12_GLOBAL__N_121max_pool_forward_nhwcIflEEvPKT_iT0_S6_S6_S6_S6_iiiiiiiiS6_S6_S6_S6_iiPS3_Pl.num_agpr, 0
	.set _ZN2at6native12_GLOBAL__N_121max_pool_forward_nhwcIflEEvPKT_iT0_S6_S6_S6_S6_iiiiiiiiS6_S6_S6_S6_iiPS3_Pl.numbered_sgpr, 81
	.set _ZN2at6native12_GLOBAL__N_121max_pool_forward_nhwcIflEEvPKT_iT0_S6_S6_S6_S6_iiiiiiiiS6_S6_S6_S6_iiPS3_Pl.num_named_barrier, 0
	.set _ZN2at6native12_GLOBAL__N_121max_pool_forward_nhwcIflEEvPKT_iT0_S6_S6_S6_S6_iiiiiiiiS6_S6_S6_S6_iiPS3_Pl.private_seg_size, 0
	.set _ZN2at6native12_GLOBAL__N_121max_pool_forward_nhwcIflEEvPKT_iT0_S6_S6_S6_S6_iiiiiiiiS6_S6_S6_S6_iiPS3_Pl.uses_vcc, 1
	.set _ZN2at6native12_GLOBAL__N_121max_pool_forward_nhwcIflEEvPKT_iT0_S6_S6_S6_S6_iiiiiiiiS6_S6_S6_S6_iiPS3_Pl.uses_flat_scratch, 0
	.set _ZN2at6native12_GLOBAL__N_121max_pool_forward_nhwcIflEEvPKT_iT0_S6_S6_S6_S6_iiiiiiiiS6_S6_S6_S6_iiPS3_Pl.has_dyn_sized_stack, 0
	.set _ZN2at6native12_GLOBAL__N_121max_pool_forward_nhwcIflEEvPKT_iT0_S6_S6_S6_S6_iiiiiiiiS6_S6_S6_S6_iiPS3_Pl.has_recursion, 0
	.set _ZN2at6native12_GLOBAL__N_121max_pool_forward_nhwcIflEEvPKT_iT0_S6_S6_S6_S6_iiiiiiiiS6_S6_S6_S6_iiPS3_Pl.has_indirect_call, 0
	.section	.AMDGPU.csdata,"",@progbits
; Kernel info:
; codeLenInByte = 4428
; TotalNumSgprs: 87
; NumVgprs: 64
; NumAgprs: 0
; TotalNumVgprs: 64
; ScratchSize: 0
; MemoryBound: 0
; FloatMode: 240
; IeeeMode: 1
; LDSByteSize: 0 bytes/workgroup (compile time only)
; SGPRBlocks: 10
; VGPRBlocks: 7
; NumSGPRsForWavesPerEU: 87
; NumVGPRsForWavesPerEU: 64
; AccumOffset: 64
; Occupancy: 8
; WaveLimiterHint : 1
; COMPUTE_PGM_RSRC2:SCRATCH_EN: 0
; COMPUTE_PGM_RSRC2:USER_SGPR: 2
; COMPUTE_PGM_RSRC2:TRAP_HANDLER: 0
; COMPUTE_PGM_RSRC2:TGID_X_EN: 1
; COMPUTE_PGM_RSRC2:TGID_Y_EN: 1
; COMPUTE_PGM_RSRC2:TGID_Z_EN: 1
; COMPUTE_PGM_RSRC2:TIDIG_COMP_CNT: 2
; COMPUTE_PGM_RSRC3_GFX90A:ACCUM_OFFSET: 15
; COMPUTE_PGM_RSRC3_GFX90A:TG_SPLIT: 0
	.section	.text._ZN2at6native12_GLOBAL__N_121max_pool_forward_nchwIfiEEvT0_PKT_llliiiiiiiiiiPS4_Pl,"axG",@progbits,_ZN2at6native12_GLOBAL__N_121max_pool_forward_nchwIfiEEvT0_PKT_llliiiiiiiiiiPS4_Pl,comdat
	.globl	_ZN2at6native12_GLOBAL__N_121max_pool_forward_nchwIfiEEvT0_PKT_llliiiiiiiiiiPS4_Pl ; -- Begin function _ZN2at6native12_GLOBAL__N_121max_pool_forward_nchwIfiEEvT0_PKT_llliiiiiiiiiiPS4_Pl
	.p2align	8
	.type	_ZN2at6native12_GLOBAL__N_121max_pool_forward_nchwIfiEEvT0_PKT_llliiiiiiiiiiPS4_Pl,@function
_ZN2at6native12_GLOBAL__N_121max_pool_forward_nchwIfiEEvT0_PKT_llliiiiiiiiiiPS4_Pl: ; @_ZN2at6native12_GLOBAL__N_121max_pool_forward_nchwIfiEEvT0_PKT_llliiiiiiiiiiPS4_Pl
; %bb.0:
	s_load_dword s6, s[0:1], 0x0
	s_load_dword s3, s[0:1], 0x6c
	v_mov_b32_e32 v1, 0
	v_mov_b32_e32 v2, s2
	s_waitcnt lgkmcnt(0)
	s_ashr_i32 s7, s6, 31
	s_add_u32 s4, s0, 0x60
	s_addc_u32 s5, s1, 0
	s_and_b32 s3, s3, 0xffff
	v_mad_u64_u32 v[0:1], s[8:9], s3, v2, v[0:1]
	v_cmp_gt_i64_e32 vcc, s[6:7], v[0:1]
	s_and_saveexec_b64 s[8:9], vcc
	s_cbranch_execz .LBB6_11
; %bb.1:
	s_load_dwordx8 s[8:15], s[0:1], 0x28
	s_load_dwordx2 s[24:25], s[0:1], 0x48
	s_load_dwordx2 s[26:27], s[0:1], 0x8
	s_load_dwordx4 s[16:19], s[0:1], 0x18
	s_load_dwordx4 s[20:23], s[0:1], 0x50
	s_load_dword s2, s[4:5], 0x0
	s_waitcnt lgkmcnt(0)
	s_abs_i32 s48, s9
	v_cvt_f32_u32_e32 v2, s48
	s_abs_i32 s52, s8
	v_cvt_f32_u32_e32 v3, s52
	s_add_i32 s0, s10, -1
	v_rcp_iflag_f32_e32 v2, v2
	s_mul_i32 s33, s24, s0
	s_add_i32 s0, s11, -1
	v_rcp_iflag_f32_e32 v3, v3
	v_mul_f32_e32 v2, 0x4f7ffffe, v2
	v_cvt_u32_f32_e32 v2, v2
	s_mul_i32 s49, s25, s0
	s_sub_i32 s0, 0, s48
	s_max_u32 s50, s24, 1
	v_mul_lo_u32 v4, s0, v2
	v_mul_hi_u32 v4, v2, v4
	v_add_u32_e32 v10, v2, v4
	v_mul_f32_e32 v2, 0x4f7ffffe, v3
	v_cvt_f32_u32_e32 v3, s50
	s_max_u32 s51, s25, 1
	v_cvt_f32_u32_e32 v5, s51
	v_cvt_u32_f32_e32 v2, v2
	v_rcp_iflag_f32_e32 v3, v3
	s_sub_i32 s0, 0, s52
	v_rcp_iflag_f32_e32 v5, v5
	v_mul_lo_u32 v4, s0, v2
	v_mul_f32_e32 v3, 0x4f7ffffe, v3
	v_mul_hi_u32 v4, v2, v4
	v_cvt_u32_f32_e32 v3, v3
	v_add_u32_e32 v11, v2, v4
	v_mul_f32_e32 v4, 0x4f7ffffe, v5
	v_cvt_u32_f32_e32 v4, v4
	s_sub_i32 s0, 0, s50
	v_mul_lo_u32 v2, s0, v3
	v_mul_hi_u32 v2, v3, v2
	s_sub_i32 s0, 0, s51
	v_add_u32_e32 v12, v3, v2
	v_mul_lo_u32 v2, s0, v4
	s_mul_i32 s0, s18, s17
	s_mul_hi_u32 s1, s18, s16
	s_add_i32 s0, s1, s0
	s_mul_i32 s1, s19, s16
	s_add_i32 s1, s0, s1
	s_mul_i32 s0, s18, s16
	s_lshl_b64 s[28:29], s[0:1], 2
	s_ashr_i32 s0, s24, 31
	s_mul_hi_u32 s1, s18, s24
	s_mul_i32 s0, s18, s0
	s_add_i32 s0, s1, s0
	s_mul_i32 s1, s19, s24
	v_mul_hi_u32 v2, v4, v2
	s_add_i32 s31, s0, s1
	s_mul_i32 s30, s24, s18
	s_ashr_i32 s1, s25, 31
	s_mov_b32 s0, s25
	s_add_i32 s33, s33, 1
	s_add_i32 s49, s49, 1
	s_mul_i32 s10, s2, s3
	s_mov_b32 s11, 0
	s_ashr_i32 s53, s9, 31
	s_ashr_i32 s54, s8, 31
	v_add_u32_e32 v13, v4, v2
	s_sub_i32 s17, 0, s15
	s_lshl_b64 s[34:35], s[30:31], 2
	s_lshl_b64 s[36:37], s[0:1], 2
	s_mov_b64 s[38:39], 0
	s_branch .LBB6_4
.LBB6_2:                                ;   in Loop: Header=BB6_4 Depth=1
	s_or_b64 exec, exec, s[42:43]
.LBB6_3:                                ;   in Loop: Header=BB6_4 Depth=1
	s_or_b64 exec, exec, s[40:41]
	v_lshl_add_u64 v[2:3], v[0:1], 2, s[20:21]
	global_store_dword v[2:3], v16, off
	v_lshl_add_u64 v[2:3], v[0:1], 3, s[22:23]
	v_lshl_add_u64 v[0:1], v[0:1], 0, s[10:11]
	v_cmp_le_i64_e32 vcc, s[6:7], v[0:1]
	v_ashrrev_i32_e32 v5, 31, v4
	s_or_b64 s[38:39], vcc, s[38:39]
	global_store_dwordx2 v[2:3], v[4:5], off
	s_andn2_b64 exec, exec, s[38:39]
	s_cbranch_execz .LBB6_11
.LBB6_4:                                ; =>This Loop Header: Depth=1
                                        ;     Child Loop BB6_7 Depth 2
                                        ;       Child Loop BB6_9 Depth 3
	v_sub_u32_e32 v3, 0, v0
	v_max_i32_e32 v3, v0, v3
	v_mul_hi_u32 v4, v3, v10
	v_mul_lo_u32 v5, v4, s48
	v_sub_u32_e32 v3, v3, v5
	v_add_u32_e32 v5, 1, v4
	v_cmp_le_u32_e32 vcc, s48, v3
	v_ashrrev_i32_e32 v2, 31, v0
	v_xor_b32_e32 v2, s53, v2
	v_cndmask_b32_e32 v4, v4, v5, vcc
	v_subrev_u32_e32 v5, s48, v3
	v_cndmask_b32_e32 v3, v3, v5, vcc
	v_add_u32_e32 v5, 1, v4
	v_cmp_le_u32_e32 vcc, s48, v3
	v_mov_b32_e32 v16, 0xff800000
	s_nop 0
	v_cndmask_b32_e32 v3, v4, v5, vcc
	v_xor_b32_e32 v3, v3, v2
	v_sub_u32_e32 v2, v3, v2
	v_sub_u32_e32 v5, 0, v2
	v_max_i32_e32 v5, v2, v5
	v_mul_hi_u32 v6, v5, v11
	v_mul_lo_u32 v7, v6, s52
	v_sub_u32_e32 v5, v5, v7
	v_add_u32_e32 v7, 1, v6
	v_cmp_le_u32_e32 vcc, s52, v5
	v_ashrrev_i32_e32 v4, 31, v2
	v_xor_b32_e32 v4, s54, v4
	v_cndmask_b32_e32 v6, v6, v7, vcc
	v_subrev_u32_e32 v7, s52, v5
	v_cndmask_b32_e32 v5, v5, v7, vcc
	v_add_u32_e32 v7, 1, v6
	v_cmp_le_u32_e32 vcc, s52, v5
	v_mul_lo_u32 v3, v2, s9
	v_sub_u32_e32 v3, v0, v3
	v_cndmask_b32_e32 v5, v6, v7, vcc
	v_xor_b32_e32 v5, v5, v4
	v_sub_u32_e32 v6, v5, v4
	v_mul_lo_u32 v4, v6, s8
	v_sub_u32_e32 v2, v2, v4
	v_mul_lo_u32 v4, v2, s12
	v_subrev_u32_e32 v2, s14, v4
	v_mul_lo_u32 v7, v3, s13
	v_max_i32_e32 v3, 0, v2
	v_add_u32_e32 v3, s14, v3
	v_cmp_ne_u32_e32 vcc, v3, v4
	v_subrev_u32_e32 v8, s15, v7
	v_add_u32_e32 v5, s33, v2
	v_cndmask_b32_e64 v9, 0, 1, vcc
	v_add_u32_e32 v4, v4, v9
	v_sub_u32_e32 v3, v3, v4
	v_mul_hi_u32 v4, v3, v12
	v_mul_lo_u32 v9, v4, s50
	v_sub_u32_e32 v3, v3, v9
	v_add_u32_e32 v9, 1, v4
	v_cmp_le_u32_e64 s[0:1], s50, v3
	s_nop 1
	v_cndmask_b32_e64 v4, v4, v9, s[0:1]
	v_subrev_u32_e32 v9, s50, v3
	v_cndmask_b32_e64 v3, v3, v9, s[0:1]
	v_add_u32_e32 v9, 1, v4
	v_cmp_le_u32_e64 s[0:1], s50, v3
	s_nop 1
	v_cndmask_b32_e64 v3, v4, v9, s[0:1]
	v_addc_co_u32_e32 v3, vcc, 0, v3, vcc
	v_mad_u64_u32 v[2:3], s[0:1], s24, v3, v[2:3]
	v_max_i32_e32 v3, 0, v8
	v_add_u32_e32 v3, s15, v3
	v_cmp_ne_u32_e32 vcc, v3, v7
	v_mul_lo_u32 v14, v2, s18
	s_nop 0
	v_cndmask_b32_e64 v4, 0, 1, vcc
	v_add_u32_e32 v4, v7, v4
	v_sub_u32_e32 v3, v3, v4
	v_mul_hi_u32 v4, v3, v13
	v_mul_lo_u32 v9, v4, s51
	v_sub_u32_e32 v3, v3, v9
	v_add_u32_e32 v9, 1, v4
	v_cmp_le_u32_e64 s[0:1], s51, v3
	s_nop 1
	v_cndmask_b32_e64 v4, v4, v9, s[0:1]
	v_subrev_u32_e32 v9, s51, v3
	v_cndmask_b32_e64 v3, v3, v9, s[0:1]
	v_add_u32_e32 v9, 1, v4
	v_cmp_le_u32_e64 s[0:1], s51, v3
	s_nop 1
	v_cndmask_b32_e64 v3, v4, v9, s[0:1]
	v_addc_co_u32_e32 v3, vcc, 0, v3, vcc
	v_mul_lo_u32 v9, s25, v3
	v_min_i32_e32 v3, s16, v5
	v_add_u32_e32 v5, v8, v9
	v_add_u32_e32 v4, v5, v14
	v_cmp_lt_i32_e32 vcc, v2, v3
	s_and_saveexec_b64 s[40:41], vcc
	s_cbranch_execz .LBB6_3
; %bb.5:                                ;   in Loop: Header=BB6_4 Depth=1
	v_add_u32_e32 v8, s49, v8
	v_min_i32_e32 v15, s18, v8
	v_add3_u32 v8, s17, v9, v7
	v_ashrrev_i32_e32 v17, 31, v2
	v_ashrrev_i32_e32 v9, 31, v8
	v_mad_u64_u32 v[8:9], s[0:1], s18, v2, v[8:9]
	v_mul_lo_u32 v7, s19, v2
	v_mul_lo_u32 v17, s18, v17
	v_add3_u32 v9, v7, v9, v17
	v_ashrrev_i32_e32 v16, 31, v6
	v_lshlrev_b64 v[8:9], 2, v[8:9]
	v_mad_u64_u32 v[8:9], s[0:1], s28, v6, v[8:9]
	v_mul_lo_u32 v6, s29, v6
	v_mul_lo_u32 v7, s28, v16
	v_add3_u32 v9, v6, v9, v7
	v_cmp_lt_i32_e32 vcc, v5, v15
	v_lshl_add_u64 v[6:7], s[26:27], 0, v[8:9]
	v_mov_b32_e32 v16, 0xff800000
	s_mov_b64 s[42:43], 0
	s_branch .LBB6_7
.LBB6_6:                                ;   in Loop: Header=BB6_7 Depth=2
	s_or_b64 exec, exec, s[44:45]
	v_add_u32_e32 v2, s24, v2
	v_cmp_ge_i32_e64 s[0:1], v2, v3
	v_lshl_add_u64 v[6:7], v[6:7], 0, s[34:35]
	s_or_b64 s[42:43], s[0:1], s[42:43]
	v_add_u32_e32 v14, s30, v14
	s_andn2_b64 exec, exec, s[42:43]
	s_cbranch_execz .LBB6_2
.LBB6_7:                                ;   Parent Loop BB6_4 Depth=1
                                        ; =>  This Loop Header: Depth=2
                                        ;       Child Loop BB6_9 Depth 3
	s_and_saveexec_b64 s[44:45], vcc
	s_cbranch_execz .LBB6_6
; %bb.8:                                ;   in Loop: Header=BB6_7 Depth=2
	s_mov_b64 s[46:47], 0
	v_mov_b64_e32 v[8:9], v[6:7]
	v_mov_b32_e32 v17, v5
.LBB6_9:                                ;   Parent Loop BB6_4 Depth=1
                                        ;     Parent Loop BB6_7 Depth=2
                                        ; =>    This Inner Loop Header: Depth=3
	global_load_dword v18, v[8:9], off
	v_add_u32_e32 v19, v14, v17
	v_add_u32_e32 v17, s25, v17
	v_cmp_ge_i32_e64 s[0:1], v17, v15
	v_lshl_add_u64 v[8:9], v[8:9], 0, s[36:37]
	s_waitcnt vmcnt(0)
	v_cmp_gt_f32_e64 s[2:3], v18, v16
	v_cmp_u_f32_e64 s[4:5], v18, v18
	s_or_b64 s[2:3], s[2:3], s[4:5]
	v_cndmask_b32_e64 v16, v16, v18, s[2:3]
	s_or_b64 s[46:47], s[0:1], s[46:47]
	v_cndmask_b32_e64 v4, v4, v19, s[2:3]
	s_andn2_b64 exec, exec, s[46:47]
	s_cbranch_execnz .LBB6_9
; %bb.10:                               ;   in Loop: Header=BB6_7 Depth=2
	s_or_b64 exec, exec, s[46:47]
	s_branch .LBB6_6
.LBB6_11:
	s_endpgm
	.section	.rodata,"a",@progbits
	.p2align	6, 0x0
	.amdhsa_kernel _ZN2at6native12_GLOBAL__N_121max_pool_forward_nchwIfiEEvT0_PKT_llliiiiiiiiiiPS4_Pl
		.amdhsa_group_segment_fixed_size 0
		.amdhsa_private_segment_fixed_size 0
		.amdhsa_kernarg_size 352
		.amdhsa_user_sgpr_count 2
		.amdhsa_user_sgpr_dispatch_ptr 0
		.amdhsa_user_sgpr_queue_ptr 0
		.amdhsa_user_sgpr_kernarg_segment_ptr 1
		.amdhsa_user_sgpr_dispatch_id 0
		.amdhsa_user_sgpr_kernarg_preload_length 0
		.amdhsa_user_sgpr_kernarg_preload_offset 0
		.amdhsa_user_sgpr_private_segment_size 0
		.amdhsa_uses_dynamic_stack 0
		.amdhsa_enable_private_segment 0
		.amdhsa_system_sgpr_workgroup_id_x 1
		.amdhsa_system_sgpr_workgroup_id_y 0
		.amdhsa_system_sgpr_workgroup_id_z 0
		.amdhsa_system_sgpr_workgroup_info 0
		.amdhsa_system_vgpr_workitem_id 0
		.amdhsa_next_free_vgpr 20
		.amdhsa_next_free_sgpr 55
		.amdhsa_accum_offset 20
		.amdhsa_reserve_vcc 1
		.amdhsa_float_round_mode_32 0
		.amdhsa_float_round_mode_16_64 0
		.amdhsa_float_denorm_mode_32 3
		.amdhsa_float_denorm_mode_16_64 3
		.amdhsa_dx10_clamp 1
		.amdhsa_ieee_mode 1
		.amdhsa_fp16_overflow 0
		.amdhsa_tg_split 0
		.amdhsa_exception_fp_ieee_invalid_op 0
		.amdhsa_exception_fp_denorm_src 0
		.amdhsa_exception_fp_ieee_div_zero 0
		.amdhsa_exception_fp_ieee_overflow 0
		.amdhsa_exception_fp_ieee_underflow 0
		.amdhsa_exception_fp_ieee_inexact 0
		.amdhsa_exception_int_div_zero 0
	.end_amdhsa_kernel
	.section	.text._ZN2at6native12_GLOBAL__N_121max_pool_forward_nchwIfiEEvT0_PKT_llliiiiiiiiiiPS4_Pl,"axG",@progbits,_ZN2at6native12_GLOBAL__N_121max_pool_forward_nchwIfiEEvT0_PKT_llliiiiiiiiiiPS4_Pl,comdat
.Lfunc_end6:
	.size	_ZN2at6native12_GLOBAL__N_121max_pool_forward_nchwIfiEEvT0_PKT_llliiiiiiiiiiPS4_Pl, .Lfunc_end6-_ZN2at6native12_GLOBAL__N_121max_pool_forward_nchwIfiEEvT0_PKT_llliiiiiiiiiiPS4_Pl
                                        ; -- End function
	.set _ZN2at6native12_GLOBAL__N_121max_pool_forward_nchwIfiEEvT0_PKT_llliiiiiiiiiiPS4_Pl.num_vgpr, 20
	.set _ZN2at6native12_GLOBAL__N_121max_pool_forward_nchwIfiEEvT0_PKT_llliiiiiiiiiiPS4_Pl.num_agpr, 0
	.set _ZN2at6native12_GLOBAL__N_121max_pool_forward_nchwIfiEEvT0_PKT_llliiiiiiiiiiPS4_Pl.numbered_sgpr, 55
	.set _ZN2at6native12_GLOBAL__N_121max_pool_forward_nchwIfiEEvT0_PKT_llliiiiiiiiiiPS4_Pl.num_named_barrier, 0
	.set _ZN2at6native12_GLOBAL__N_121max_pool_forward_nchwIfiEEvT0_PKT_llliiiiiiiiiiPS4_Pl.private_seg_size, 0
	.set _ZN2at6native12_GLOBAL__N_121max_pool_forward_nchwIfiEEvT0_PKT_llliiiiiiiiiiPS4_Pl.uses_vcc, 1
	.set _ZN2at6native12_GLOBAL__N_121max_pool_forward_nchwIfiEEvT0_PKT_llliiiiiiiiiiPS4_Pl.uses_flat_scratch, 0
	.set _ZN2at6native12_GLOBAL__N_121max_pool_forward_nchwIfiEEvT0_PKT_llliiiiiiiiiiPS4_Pl.has_dyn_sized_stack, 0
	.set _ZN2at6native12_GLOBAL__N_121max_pool_forward_nchwIfiEEvT0_PKT_llliiiiiiiiiiPS4_Pl.has_recursion, 0
	.set _ZN2at6native12_GLOBAL__N_121max_pool_forward_nchwIfiEEvT0_PKT_llliiiiiiiiiiPS4_Pl.has_indirect_call, 0
	.section	.AMDGPU.csdata,"",@progbits
; Kernel info:
; codeLenInByte = 1284
; TotalNumSgprs: 61
; NumVgprs: 20
; NumAgprs: 0
; TotalNumVgprs: 20
; ScratchSize: 0
; MemoryBound: 0
; FloatMode: 240
; IeeeMode: 1
; LDSByteSize: 0 bytes/workgroup (compile time only)
; SGPRBlocks: 7
; VGPRBlocks: 2
; NumSGPRsForWavesPerEU: 61
; NumVGPRsForWavesPerEU: 20
; AccumOffset: 20
; Occupancy: 8
; WaveLimiterHint : 0
; COMPUTE_PGM_RSRC2:SCRATCH_EN: 0
; COMPUTE_PGM_RSRC2:USER_SGPR: 2
; COMPUTE_PGM_RSRC2:TRAP_HANDLER: 0
; COMPUTE_PGM_RSRC2:TGID_X_EN: 1
; COMPUTE_PGM_RSRC2:TGID_Y_EN: 0
; COMPUTE_PGM_RSRC2:TGID_Z_EN: 0
; COMPUTE_PGM_RSRC2:TIDIG_COMP_CNT: 0
; COMPUTE_PGM_RSRC3_GFX90A:ACCUM_OFFSET: 4
; COMPUTE_PGM_RSRC3_GFX90A:TG_SPLIT: 0
	.section	.text._ZN2at6native12_GLOBAL__N_121max_pool_forward_nchwIflEEvT0_PKT_llliiiiiiiiiiPS4_Pl,"axG",@progbits,_ZN2at6native12_GLOBAL__N_121max_pool_forward_nchwIflEEvT0_PKT_llliiiiiiiiiiPS4_Pl,comdat
	.globl	_ZN2at6native12_GLOBAL__N_121max_pool_forward_nchwIflEEvT0_PKT_llliiiiiiiiiiPS4_Pl ; -- Begin function _ZN2at6native12_GLOBAL__N_121max_pool_forward_nchwIflEEvT0_PKT_llliiiiiiiiiiPS4_Pl
	.p2align	8
	.type	_ZN2at6native12_GLOBAL__N_121max_pool_forward_nchwIflEEvT0_PKT_llliiiiiiiiiiPS4_Pl,@function
_ZN2at6native12_GLOBAL__N_121max_pool_forward_nchwIflEEvT0_PKT_llliiiiiiiiiiPS4_Pl: ; @_ZN2at6native12_GLOBAL__N_121max_pool_forward_nchwIflEEvT0_PKT_llliiiiiiiiiiPS4_Pl
; %bb.0:
	s_load_dword s3, s[0:1], 0x6c
	s_load_dwordx4 s[16:19], s[0:1], 0x0
	s_add_u32 s4, s0, 0x60
	v_mov_b32_e32 v2, 0
	s_addc_u32 s5, s1, 0
	s_waitcnt lgkmcnt(0)
	s_and_b32 s3, s3, 0xffff
	v_mov_b32_e32 v1, v2
	v_mov_b32_e32 v3, s2
	v_mad_u64_u32 v[0:1], s[6:7], s3, v3, v[0:1]
	v_cmp_gt_i64_e32 vcc, s[16:17], v[0:1]
	s_and_saveexec_b64 s[6:7], vcc
	s_cbranch_execz .LBB7_27
; %bb.1:
	s_load_dwordx8 s[8:15], s[0:1], 0x28
	s_load_dwordx4 s[20:23], s[0:1], 0x18
	s_load_dwordx2 s[6:7], s[0:1], 0x48
	s_load_dwordx4 s[24:27], s[0:1], 0x50
	s_load_dword s2, s[4:5], 0x0
	s_waitcnt lgkmcnt(0)
	v_cvt_f32_u32_e32 v3, s9
	s_add_i32 s0, s10, -1
	s_mul_i32 s53, s6, s0
	s_add_i32 s0, s11, -1
	s_mul_i32 s54, s7, s0
	s_ashr_i32 s11, s6, 31
	s_mov_b32 s10, s6
	v_rcp_iflag_f32_e32 v3, v3
	s_ashr_i32 s33, s9, 31
	s_ashr_i32 s48, s8, 31
	;; [unrolled: 1-line block ×3, first 2 shown]
	s_mov_b32 s50, s12
	s_ashr_i32 s29, s14, 31
	s_ashr_i32 s51, s13, 31
	s_mov_b32 s52, s13
	s_ashr_i32 s13, s15, 31
	s_mov_b32 s12, s15
	s_add_i32 s53, s53, 1
	s_add_i32 s54, s54, 1
	s_ashr_i32 s15, s7, 31
	v_cmp_gt_u64_e64 s[0:1], s[10:11], 1
	s_mov_b32 s28, s14
	s_mov_b32 s14, s7
	s_and_b64 s[0:1], s[0:1], exec
	v_cmp_gt_u64_e64 s[0:1], s[14:15], 1
	s_cselect_b32 s55, s11, 0
	s_cselect_b32 s56, s6, 1
	s_and_b64 s[0:1], s[0:1], exec
	v_mul_f32_e32 v3, 0x4f7ffffe, v3
	s_mul_i32 s0, s22, s21
	s_mul_hi_u32 s1, s22, s20
	v_cvt_u32_f32_e32 v18, v3
	s_cselect_b32 s57, s15, 0
	s_cselect_b32 s58, s7, 1
	s_add_i32 s0, s1, s0
	s_mul_i32 s1, s23, s20
	s_add_i32 s1, s0, s1
	s_mul_i32 s0, s22, s20
	s_mul_i32 s30, s2, s3
	s_mov_b32 s31, 0
	s_lshl_b64 s[34:35], s[0:1], 2
	s_lshl_b64 s[36:37], s[14:15], 2
	s_mov_b64 s[38:39], 0
	s_branch .LBB7_4
.LBB7_2:                                ;   in Loop: Header=BB7_4 Depth=1
	s_or_b64 exec, exec, s[42:43]
.LBB7_3:                                ;   in Loop: Header=BB7_4 Depth=1
	s_or_b64 exec, exec, s[40:41]
	v_lshl_add_u64 v[4:5], v[0:1], 2, s[24:25]
	global_store_dword v[4:5], v16, off
	v_lshl_add_u64 v[4:5], v[0:1], 3, s[26:27]
	v_lshl_add_u64 v[0:1], v[0:1], 0, s[30:31]
	v_cmp_le_i64_e32 vcc, s[16:17], v[0:1]
	s_or_b64 s[38:39], vcc, s[38:39]
	global_store_dwordx2 v[4:5], v[8:9], off
	s_andn2_b64 exec, exec, s[38:39]
	s_cbranch_execz .LBB7_27
.LBB7_4:                                ; =>This Loop Header: Depth=1
                                        ;     Child Loop BB7_23 Depth 2
                                        ;       Child Loop BB7_25 Depth 3
	v_or_b32_e32 v3, s33, v1
	v_cmp_ne_u64_e32 vcc, 0, v[2:3]
                                        ; implicit-def: $vgpr6_vgpr7
	s_and_saveexec_b64 s[0:1], vcc
	s_xor_b64 s[2:3], exec, s[0:1]
	s_cbranch_execz .LBB7_6
; %bb.5:                                ;   in Loop: Header=BB7_4 Depth=1
	s_ashr_i32 s4, s33, 31
	s_add_u32 s0, s9, s4
	s_mov_b32 s5, s4
	s_addc_u32 s1, s33, s4
	s_xor_b64 s[40:41], s[0:1], s[4:5]
	v_cvt_f32_u32_e32 v3, s40
	v_cvt_f32_u32_e32 v4, s41
	s_sub_u32 s5, 0, s40
	s_subb_u32 s21, 0, s41
	v_mov_b32_e32 v9, v2
	v_fmac_f32_e32 v3, 0x4f800000, v4
	v_rcp_f32_e32 v3, v3
	s_nop 0
	v_mul_f32_e32 v3, 0x5f7ffffc, v3
	v_mul_f32_e32 v4, 0x2f800000, v3
	v_trunc_f32_e32 v4, v4
	v_fmac_f32_e32 v3, 0xcf800000, v4
	v_cvt_u32_f32_e32 v4, v4
	v_cvt_u32_f32_e32 v3, v3
	v_readfirstlane_b32 s42, v4
	v_readfirstlane_b32 s0, v3
	s_mul_i32 s1, s5, s42
	s_mul_hi_u32 s44, s5, s0
	s_mul_i32 s43, s21, s0
	s_add_i32 s1, s44, s1
	s_add_i32 s1, s1, s43
	s_mul_i32 s45, s5, s0
	s_mul_i32 s44, s0, s1
	s_mul_hi_u32 s46, s0, s45
	s_mul_hi_u32 s43, s0, s1
	s_add_u32 s44, s46, s44
	s_addc_u32 s43, 0, s43
	s_mul_hi_u32 s47, s42, s45
	s_mul_i32 s45, s42, s45
	s_add_u32 s44, s44, s45
	s_mul_hi_u32 s46, s42, s1
	s_addc_u32 s43, s43, s47
	s_addc_u32 s44, s46, 0
	s_mul_i32 s1, s42, s1
	s_add_u32 s1, s43, s1
	s_addc_u32 s43, 0, s44
	s_add_u32 s44, s0, s1
	s_cselect_b64 s[0:1], -1, 0
	s_cmp_lg_u64 s[0:1], 0
	s_addc_u32 s42, s42, s43
	s_mul_i32 s0, s5, s42
	s_mul_hi_u32 s1, s5, s44
	s_add_i32 s0, s1, s0
	s_mul_i32 s21, s21, s44
	s_add_i32 s0, s0, s21
	s_mul_i32 s5, s5, s44
	s_mul_hi_u32 s21, s42, s5
	s_mul_i32 s43, s42, s5
	s_mul_i32 s46, s44, s0
	s_mul_hi_u32 s5, s44, s5
	s_mul_hi_u32 s45, s44, s0
	s_add_u32 s5, s5, s46
	s_addc_u32 s45, 0, s45
	s_add_u32 s5, s5, s43
	s_mul_hi_u32 s1, s42, s0
	s_addc_u32 s5, s45, s21
	s_addc_u32 s1, s1, 0
	s_mul_i32 s0, s42, s0
	s_add_u32 s0, s5, s0
	s_addc_u32 s5, 0, s1
	s_add_u32 s21, s44, s0
	v_ashrrev_i32_e32 v4, 31, v1
	s_cselect_b64 s[0:1], -1, 0
	v_mov_b32_e32 v5, v4
	s_cmp_lg_u64 s[0:1], 0
	v_lshl_add_u64 v[6:7], v[0:1], 0, v[4:5]
	s_addc_u32 s5, s42, s5
	v_xor_b32_e32 v5, v6, v4
	v_xor_b32_e32 v3, v7, v4
	v_mad_u64_u32 v[6:7], s[0:1], v5, s5, 0
	v_mul_hi_u32 v8, v5, s21
	v_lshl_add_u64 v[6:7], v[8:9], 0, v[6:7]
	v_mad_u64_u32 v[10:11], s[0:1], v3, s21, 0
	v_add_co_u32_e32 v6, vcc, v6, v10
	v_mad_u64_u32 v[8:9], s[0:1], v3, s5, 0
	s_nop 0
	v_addc_co_u32_e32 v6, vcc, v7, v11, vcc
	v_mov_b32_e32 v7, v2
	s_nop 0
	v_addc_co_u32_e32 v9, vcc, 0, v9, vcc
	v_lshl_add_u64 v[6:7], v[6:7], 0, v[8:9]
	v_mul_lo_u32 v10, s41, v6
	v_mul_lo_u32 v11, s40, v7
	v_mad_u64_u32 v[8:9], s[0:1], s40, v6, 0
	v_add3_u32 v12, v9, v11, v10
	v_sub_u32_e32 v9, v3, v12
	v_mov_b32_e32 v10, s41
	v_sub_co_u32_e32 v5, vcc, v5, v8
	v_xor_b32_e32 v4, s4, v4
	s_nop 0
	v_subb_co_u32_e64 v8, s[0:1], v9, v10, vcc
	v_subrev_co_u32_e64 v9, s[0:1], s40, v5
	v_subb_co_u32_e32 v3, vcc, v3, v12, vcc
	s_nop 0
	v_subbrev_co_u32_e64 v8, s[0:1], 0, v8, s[0:1]
	v_cmp_le_u32_e64 s[0:1], s41, v8
	v_cmp_le_u32_e32 vcc, s41, v3
	s_nop 0
	v_cndmask_b32_e64 v10, 0, -1, s[0:1]
	v_cmp_le_u32_e64 s[0:1], s40, v9
	s_nop 1
	v_cndmask_b32_e64 v9, 0, -1, s[0:1]
	v_cmp_eq_u32_e64 s[0:1], s41, v8
	s_nop 1
	v_cndmask_b32_e64 v13, v10, v9, s[0:1]
	v_lshl_add_u64 v[8:9], v[6:7], 0, 2
	v_lshl_add_u64 v[10:11], v[6:7], 0, 1
	v_cmp_ne_u32_e64 s[0:1], 0, v13
	s_nop 1
	v_cndmask_b32_e64 v9, v11, v9, s[0:1]
	v_cndmask_b32_e64 v11, 0, -1, vcc
	v_cmp_le_u32_e32 vcc, s40, v5
	s_nop 1
	v_cndmask_b32_e64 v5, 0, -1, vcc
	v_cmp_eq_u32_e32 vcc, s41, v3
	s_nop 1
	v_cndmask_b32_e32 v3, v11, v5, vcc
	v_cmp_ne_u32_e32 vcc, 0, v3
	v_cndmask_b32_e64 v5, v10, v8, s[0:1]
	s_nop 0
	v_cndmask_b32_e32 v5, v6, v5, vcc
	v_cndmask_b32_e32 v3, v7, v9, vcc
	v_xor_b32_e32 v5, v5, v4
	v_xor_b32_e32 v3, v3, v4
	v_sub_co_u32_e32 v6, vcc, v5, v4
	s_nop 1
	v_subb_co_u32_e32 v7, vcc, v3, v4, vcc
.LBB7_6:                                ;   in Loop: Header=BB7_4 Depth=1
	s_andn2_saveexec_b64 s[0:1], s[2:3]
	s_cbranch_execz .LBB7_8
; %bb.7:                                ;   in Loop: Header=BB7_4 Depth=1
	s_sub_i32 s2, 0, s9
	v_mul_lo_u32 v3, s2, v18
	v_mul_hi_u32 v3, v18, v3
	v_add_u32_e32 v3, v18, v3
	v_mul_hi_u32 v3, v0, v3
	v_mul_lo_u32 v4, v3, s9
	v_sub_u32_e32 v4, v0, v4
	v_subrev_u32_e32 v5, s9, v4
	v_cmp_le_u32_e32 vcc, s9, v4
	v_mov_b32_e32 v7, v2
	s_nop 0
	v_cndmask_b32_e32 v4, v4, v5, vcc
	v_add_u32_e32 v5, 1, v3
	v_cndmask_b32_e32 v3, v3, v5, vcc
	v_add_u32_e32 v5, 1, v3
	v_cmp_le_u32_e32 vcc, s9, v4
	s_nop 1
	v_cndmask_b32_e32 v6, v3, v5, vcc
.LBB7_8:                                ;   in Loop: Header=BB7_4 Depth=1
	s_or_b64 exec, exec, s[0:1]
	v_or_b32_e32 v3, s48, v7
	v_cmp_ne_u64_e32 vcc, 0, v[2:3]
                                        ; implicit-def: $vgpr4_vgpr5
	s_and_saveexec_b64 s[0:1], vcc
	s_xor_b64 s[2:3], exec, s[0:1]
	s_cbranch_execz .LBB7_10
; %bb.9:                                ;   in Loop: Header=BB7_4 Depth=1
	s_ashr_i32 s4, s48, 31
	s_add_u32 s0, s8, s4
	s_mov_b32 s5, s4
	s_addc_u32 s1, s48, s4
	s_xor_b64 s[40:41], s[0:1], s[4:5]
	v_cvt_f32_u32_e32 v3, s40
	v_cvt_f32_u32_e32 v4, s41
	s_sub_u32 s5, 0, s40
	s_subb_u32 s21, 0, s41
	v_mov_b32_e32 v11, v2
	v_fmac_f32_e32 v3, 0x4f800000, v4
	v_rcp_f32_e32 v3, v3
	s_nop 0
	v_mul_f32_e32 v3, 0x5f7ffffc, v3
	v_mul_f32_e32 v4, 0x2f800000, v3
	v_trunc_f32_e32 v4, v4
	v_fmac_f32_e32 v3, 0xcf800000, v4
	v_cvt_u32_f32_e32 v4, v4
	v_cvt_u32_f32_e32 v3, v3
	v_readfirstlane_b32 s42, v4
	v_readfirstlane_b32 s0, v3
	s_mul_i32 s1, s5, s42
	s_mul_hi_u32 s44, s5, s0
	s_mul_i32 s43, s21, s0
	s_add_i32 s1, s44, s1
	s_add_i32 s1, s1, s43
	s_mul_i32 s45, s5, s0
	s_mul_i32 s44, s0, s1
	s_mul_hi_u32 s46, s0, s45
	s_mul_hi_u32 s43, s0, s1
	s_add_u32 s44, s46, s44
	s_addc_u32 s43, 0, s43
	s_mul_hi_u32 s47, s42, s45
	s_mul_i32 s45, s42, s45
	s_add_u32 s44, s44, s45
	s_mul_hi_u32 s46, s42, s1
	s_addc_u32 s43, s43, s47
	s_addc_u32 s44, s46, 0
	s_mul_i32 s1, s42, s1
	s_add_u32 s1, s43, s1
	s_addc_u32 s43, 0, s44
	s_add_u32 s44, s0, s1
	s_cselect_b64 s[0:1], -1, 0
	s_cmp_lg_u64 s[0:1], 0
	s_addc_u32 s42, s42, s43
	s_mul_i32 s0, s5, s42
	s_mul_hi_u32 s1, s5, s44
	s_add_i32 s0, s1, s0
	s_mul_i32 s21, s21, s44
	s_add_i32 s0, s0, s21
	s_mul_i32 s5, s5, s44
	s_mul_hi_u32 s21, s42, s5
	s_mul_i32 s43, s42, s5
	s_mul_i32 s46, s44, s0
	s_mul_hi_u32 s5, s44, s5
	s_mul_hi_u32 s45, s44, s0
	s_add_u32 s5, s5, s46
	s_addc_u32 s45, 0, s45
	s_add_u32 s5, s5, s43
	s_mul_hi_u32 s1, s42, s0
	s_addc_u32 s5, s45, s21
	s_addc_u32 s1, s1, 0
	s_mul_i32 s0, s42, s0
	s_add_u32 s0, s5, s0
	s_addc_u32 s5, 0, s1
	s_add_u32 s21, s44, s0
	v_ashrrev_i32_e32 v4, 31, v7
	s_cselect_b64 s[0:1], -1, 0
	v_mov_b32_e32 v5, v4
	s_cmp_lg_u64 s[0:1], 0
	v_lshl_add_u64 v[8:9], v[6:7], 0, v[4:5]
	s_addc_u32 s5, s42, s5
	v_xor_b32_e32 v5, v8, v4
	v_xor_b32_e32 v3, v9, v4
	v_mad_u64_u32 v[8:9], s[0:1], v5, s5, 0
	v_mul_hi_u32 v10, v5, s21
	v_lshl_add_u64 v[8:9], v[10:11], 0, v[8:9]
	v_mad_u64_u32 v[12:13], s[0:1], v3, s21, 0
	v_add_co_u32_e32 v8, vcc, v8, v12
	v_mad_u64_u32 v[10:11], s[0:1], v3, s5, 0
	s_nop 0
	v_addc_co_u32_e32 v8, vcc, v9, v13, vcc
	v_mov_b32_e32 v9, v2
	s_nop 0
	v_addc_co_u32_e32 v11, vcc, 0, v11, vcc
	v_lshl_add_u64 v[8:9], v[8:9], 0, v[10:11]
	v_mul_lo_u32 v12, s41, v8
	v_mul_lo_u32 v13, s40, v9
	v_mad_u64_u32 v[10:11], s[0:1], s40, v8, 0
	v_add3_u32 v14, v11, v13, v12
	v_sub_u32_e32 v11, v3, v14
	v_mov_b32_e32 v12, s41
	v_sub_co_u32_e32 v5, vcc, v5, v10
	s_nop 1
	v_subb_co_u32_e64 v10, s[0:1], v11, v12, vcc
	v_subrev_co_u32_e64 v11, s[0:1], s40, v5
	v_subb_co_u32_e32 v3, vcc, v3, v14, vcc
	s_nop 0
	v_subbrev_co_u32_e64 v10, s[0:1], 0, v10, s[0:1]
	v_cmp_le_u32_e64 s[0:1], s41, v10
	v_cmp_le_u32_e32 vcc, s41, v3
	s_nop 0
	v_cndmask_b32_e64 v12, 0, -1, s[0:1]
	v_cmp_le_u32_e64 s[0:1], s40, v11
	s_nop 1
	v_cndmask_b32_e64 v11, 0, -1, s[0:1]
	v_cmp_eq_u32_e64 s[0:1], s41, v10
	s_nop 1
	v_cndmask_b32_e64 v15, v12, v11, s[0:1]
	v_lshl_add_u64 v[10:11], v[8:9], 0, 2
	v_lshl_add_u64 v[12:13], v[8:9], 0, 1
	v_cmp_ne_u32_e64 s[0:1], 0, v15
	s_nop 1
	v_cndmask_b32_e64 v11, v13, v11, s[0:1]
	v_cndmask_b32_e64 v13, 0, -1, vcc
	v_cmp_le_u32_e32 vcc, s40, v5
	s_nop 1
	v_cndmask_b32_e64 v5, 0, -1, vcc
	v_cmp_eq_u32_e32 vcc, s41, v3
	s_nop 1
	v_cndmask_b32_e32 v3, v13, v5, vcc
	v_cmp_ne_u32_e32 vcc, 0, v3
	v_cndmask_b32_e64 v5, v12, v10, s[0:1]
	s_nop 0
	v_cndmask_b32_e32 v5, v8, v5, vcc
	v_xor_b32_e32 v8, s4, v4
	v_cndmask_b32_e32 v3, v9, v11, vcc
	v_xor_b32_e32 v4, v5, v8
	v_xor_b32_e32 v3, v3, v8
	v_sub_co_u32_e32 v4, vcc, v4, v8
	s_nop 1
	v_subb_co_u32_e32 v5, vcc, v3, v8, vcc
.LBB7_10:                               ;   in Loop: Header=BB7_4 Depth=1
	s_andn2_saveexec_b64 s[0:1], s[2:3]
	s_cbranch_execz .LBB7_12
; %bb.11:                               ;   in Loop: Header=BB7_4 Depth=1
	v_cvt_f32_u32_e32 v3, s8
	s_sub_i32 s2, 0, s8
	v_rcp_iflag_f32_e32 v3, v3
	s_nop 0
	v_mul_f32_e32 v3, 0x4f7ffffe, v3
	v_cvt_u32_f32_e32 v3, v3
	v_mul_lo_u32 v4, s2, v3
	v_mul_hi_u32 v4, v3, v4
	v_add_u32_e32 v3, v3, v4
	v_mul_hi_u32 v3, v6, v3
	v_mul_lo_u32 v4, v3, s8
	v_sub_u32_e32 v4, v6, v4
	v_add_u32_e32 v5, 1, v3
	v_subrev_u32_e32 v8, s8, v4
	v_cmp_le_u32_e32 vcc, s8, v4
	s_nop 1
	v_cndmask_b32_e32 v4, v4, v8, vcc
	v_cndmask_b32_e32 v3, v3, v5, vcc
	v_add_u32_e32 v5, 1, v3
	v_cmp_le_u32_e32 vcc, s8, v4
	s_nop 1
	v_cndmask_b32_e32 v4, v3, v5, vcc
	v_mov_b32_e32 v5, v2
.LBB7_12:                               ;   in Loop: Header=BB7_4 Depth=1
	s_or_b64 exec, exec, s[0:1]
	v_mul_lo_u32 v3, v5, s8
	v_mul_lo_u32 v10, v4, s48
	v_mad_u64_u32 v[8:9], s[0:1], v4, s8, 0
	v_add3_u32 v3, v9, v10, v3
	v_sub_co_u32_e32 v14, vcc, v6, v8
	v_mul_lo_u32 v16, v14, s49
	s_nop 0
	v_subb_co_u32_e32 v3, vcc, v7, v3, vcc
	v_mul_lo_u32 v3, v3, s50
	v_mad_u64_u32 v[10:11], s[0:1], v14, s50, 0
	v_add3_u32 v11, v11, v16, v3
	v_mov_b32_e32 v9, s29
	v_subrev_co_u32_e32 v8, vcc, s28, v10
	s_nop 1
	v_subb_co_u32_e32 v9, vcc, v11, v9, vcc
	v_cmp_lt_i64_e32 vcc, 0, v[8:9]
	s_nop 1
	v_cndmask_b32_e32 v13, 0, v9, vcc
	v_cndmask_b32_e32 v12, 0, v8, vcc
	v_lshl_add_u64 v[12:13], v[12:13], 0, s[28:29]
	v_cmp_ne_u64_e32 vcc, v[12:13], v[10:11]
	v_mov_b32_e32 v11, s31
	s_nop 0
	v_cndmask_b32_e64 v10, 0, 1, vcc
	v_mad_u64_u32 v[14:15], s[0:1], v14, s50, v[10:11]
	v_add3_u32 v3, v3, v15, v16
	v_sub_co_u32_e32 v14, vcc, v12, v14
	s_nop 1
	v_subb_co_u32_e32 v15, vcc, v13, v3, vcc
	v_or_b32_e32 v3, s55, v15
	v_cmp_ne_u64_e32 vcc, 0, v[2:3]
                                        ; implicit-def: $vgpr12_vgpr13
	s_and_saveexec_b64 s[0:1], vcc
	s_xor_b64 s[2:3], exec, s[0:1]
	s_cbranch_execz .LBB7_14
; %bb.13:                               ;   in Loop: Header=BB7_4 Depth=1
	v_cvt_f32_u32_e32 v3, s56
	v_cvt_f32_u32_e32 v12, s55
	s_sub_u32 s4, 0, s56
	s_subb_u32 s5, 0, s55
	v_mov_b32_e32 v17, v2
	v_fmac_f32_e32 v3, 0x4f800000, v12
	v_rcp_f32_e32 v3, v3
	s_nop 0
	v_mul_f32_e32 v3, 0x5f7ffffc, v3
	v_mul_f32_e32 v12, 0x2f800000, v3
	v_trunc_f32_e32 v12, v12
	v_fmac_f32_e32 v3, 0xcf800000, v12
	v_cvt_u32_f32_e32 v12, v12
	v_cvt_u32_f32_e32 v3, v3
	v_readfirstlane_b32 s21, v12
	v_readfirstlane_b32 s0, v3
	s_mul_i32 s1, s4, s21
	s_mul_hi_u32 s41, s4, s0
	s_mul_i32 s40, s5, s0
	s_add_i32 s1, s41, s1
	s_mul_i32 s42, s4, s0
	s_add_i32 s1, s1, s40
	s_mul_i32 s41, s0, s1
	s_mul_hi_u32 s43, s0, s42
	s_mul_hi_u32 s40, s0, s1
	s_add_u32 s41, s43, s41
	s_addc_u32 s40, 0, s40
	s_mul_hi_u32 s44, s21, s42
	s_mul_i32 s42, s21, s42
	s_add_u32 s41, s41, s42
	s_mul_hi_u32 s43, s21, s1
	s_addc_u32 s40, s40, s44
	s_addc_u32 s41, s43, 0
	s_mul_i32 s1, s21, s1
	s_add_u32 s1, s40, s1
	s_addc_u32 s40, 0, s41
	s_add_u32 s41, s0, s1
	s_cselect_b64 s[0:1], -1, 0
	s_cmp_lg_u64 s[0:1], 0
	s_addc_u32 s21, s21, s40
	s_mul_i32 s0, s4, s21
	s_mul_hi_u32 s1, s4, s41
	s_add_i32 s0, s1, s0
	s_mul_i32 s5, s5, s41
	s_add_i32 s0, s0, s5
	s_mul_i32 s4, s4, s41
	s_mul_hi_u32 s5, s21, s4
	s_mul_i32 s40, s21, s4
	s_mul_i32 s43, s41, s0
	s_mul_hi_u32 s4, s41, s4
	s_mul_hi_u32 s42, s41, s0
	s_add_u32 s4, s4, s43
	s_addc_u32 s42, 0, s42
	s_add_u32 s4, s4, s40
	s_mul_hi_u32 s1, s21, s0
	s_addc_u32 s4, s42, s5
	s_addc_u32 s1, s1, 0
	s_mul_i32 s0, s21, s0
	s_add_u32 s0, s4, s0
	s_addc_u32 s4, 0, s1
	s_add_u32 s5, s41, s0
	s_cselect_b64 s[0:1], -1, 0
	s_cmp_lg_u64 s[0:1], 0
	s_addc_u32 s4, s21, s4
	v_mad_u64_u32 v[12:13], s[0:1], v14, s4, 0
	v_mul_hi_u32 v16, v14, s5
	v_lshl_add_u64 v[12:13], v[16:17], 0, v[12:13]
	v_mad_u64_u32 v[20:21], s[0:1], v15, s5, 0
	v_add_co_u32_e32 v3, vcc, v12, v20
	v_mad_u64_u32 v[16:17], s[0:1], v15, s4, 0
	s_nop 0
	v_addc_co_u32_e32 v12, vcc, v13, v21, vcc
	v_mov_b32_e32 v13, v2
	s_nop 0
	v_addc_co_u32_e32 v17, vcc, 0, v17, vcc
	v_lshl_add_u64 v[12:13], v[12:13], 0, v[16:17]
	v_mul_lo_u32 v3, s55, v12
	v_mul_lo_u32 v19, s56, v13
	v_mad_u64_u32 v[16:17], s[0:1], s56, v12, 0
	v_add3_u32 v3, v17, v19, v3
	v_sub_u32_e32 v17, v15, v3
	v_mov_b32_e32 v19, s55
	v_sub_co_u32_e32 v14, vcc, v14, v16
	v_lshl_add_u64 v[20:21], v[12:13], 0, 1
	s_nop 0
	v_subb_co_u32_e64 v16, s[0:1], v17, v19, vcc
	v_subrev_co_u32_e64 v17, s[0:1], s56, v14
	v_subb_co_u32_e32 v3, vcc, v15, v3, vcc
	s_nop 0
	v_subbrev_co_u32_e64 v16, s[0:1], 0, v16, s[0:1]
	v_cmp_le_u32_e64 s[0:1], s55, v16
	v_cmp_le_u32_e32 vcc, s55, v3
	s_nop 0
	v_cndmask_b32_e64 v19, 0, -1, s[0:1]
	v_cmp_le_u32_e64 s[0:1], s56, v17
	v_cndmask_b32_e64 v15, 0, -1, vcc
	v_cmp_le_u32_e32 vcc, s56, v14
	v_cndmask_b32_e64 v17, 0, -1, s[0:1]
	v_cmp_eq_u32_e64 s[0:1], s55, v16
	v_cndmask_b32_e64 v14, 0, -1, vcc
	v_cmp_eq_u32_e32 vcc, s55, v3
	v_cndmask_b32_e64 v19, v19, v17, s[0:1]
	v_lshl_add_u64 v[16:17], v[12:13], 0, 2
	v_cmp_ne_u32_e64 s[0:1], 0, v19
	v_cndmask_b32_e32 v3, v15, v14, vcc
	v_cmp_ne_u32_e32 vcc, 0, v3
	v_cndmask_b32_e64 v17, v21, v17, s[0:1]
	v_cndmask_b32_e64 v3, v20, v16, s[0:1]
	v_cndmask_b32_e32 v13, v13, v17, vcc
	v_cndmask_b32_e32 v12, v12, v3, vcc
                                        ; implicit-def: $vgpr14
.LBB7_14:                               ;   in Loop: Header=BB7_4 Depth=1
	s_andn2_saveexec_b64 s[0:1], s[2:3]
	s_cbranch_execz .LBB7_16
; %bb.15:                               ;   in Loop: Header=BB7_4 Depth=1
	v_cvt_f32_u32_e32 v3, s56
	s_sub_i32 s2, 0, s56
	v_rcp_iflag_f32_e32 v3, v3
	s_nop 0
	v_mul_f32_e32 v3, 0x4f7ffffe, v3
	v_cvt_u32_f32_e32 v3, v3
	v_mul_lo_u32 v12, s2, v3
	v_mul_hi_u32 v12, v3, v12
	v_add_u32_e32 v3, v3, v12
	v_mul_hi_u32 v3, v14, v3
	v_mul_lo_u32 v12, v3, s56
	v_sub_u32_e32 v12, v14, v12
	v_add_u32_e32 v13, 1, v3
	v_subrev_u32_e32 v14, s56, v12
	v_cmp_le_u32_e32 vcc, s56, v12
	s_nop 1
	v_cndmask_b32_e32 v12, v12, v14, vcc
	v_cndmask_b32_e32 v3, v3, v13, vcc
	v_add_u32_e32 v13, 1, v3
	v_cmp_le_u32_e32 vcc, s56, v12
	s_nop 1
	v_cndmask_b32_e32 v12, v3, v13, vcc
	v_mov_b32_e32 v13, v2
.LBB7_16:                               ;   in Loop: Header=BB7_4 Depth=1
	s_or_b64 exec, exec, s[0:1]
	v_mul_lo_u32 v3, v7, s9
	v_mul_lo_u32 v14, v6, s33
	v_mad_u64_u32 v[6:7], s[0:1], v6, s9, 0
	v_add3_u32 v3, v7, v14, v3
	v_sub_co_u32_e32 v19, vcc, v0, v6
	v_mul_lo_u32 v22, v19, s51
	s_nop 0
	v_subb_co_u32_e32 v3, vcc, v1, v3, vcc
	v_mul_lo_u32 v3, v3, s52
	v_mad_u64_u32 v[14:15], s[0:1], v19, s52, 0
	v_add3_u32 v15, v15, v22, v3
	v_mov_b32_e32 v7, s13
	v_subrev_co_u32_e32 v6, vcc, s12, v14
	s_nop 1
	v_subb_co_u32_e32 v7, vcc, v15, v7, vcc
	v_cmp_lt_i64_e32 vcc, 0, v[6:7]
	s_nop 1
	v_cndmask_b32_e32 v17, 0, v7, vcc
	v_cndmask_b32_e32 v16, 0, v6, vcc
	v_lshl_add_u64 v[16:17], v[16:17], 0, s[12:13]
	v_cmp_ne_u64_e32 vcc, v[16:17], v[14:15]
	v_mov_b32_e32 v15, s31
	s_nop 0
	v_cndmask_b32_e64 v14, 0, 1, vcc
	v_mad_u64_u32 v[20:21], s[0:1], v19, s52, v[14:15]
	v_add3_u32 v3, v3, v21, v22
	v_sub_co_u32_e32 v19, vcc, v16, v20
	s_nop 1
	v_subb_co_u32_e32 v20, vcc, v17, v3, vcc
	v_or_b32_e32 v3, s57, v20
	v_cmp_ne_u64_e32 vcc, 0, v[2:3]
                                        ; implicit-def: $vgpr16_vgpr17
	s_and_saveexec_b64 s[0:1], vcc
	s_xor_b64 s[2:3], exec, s[0:1]
	s_cbranch_execz .LBB7_18
; %bb.17:                               ;   in Loop: Header=BB7_4 Depth=1
	v_cvt_f32_u32_e32 v3, s58
	v_cvt_f32_u32_e32 v16, s57
	s_sub_u32 s4, 0, s58
	s_subb_u32 s5, 0, s57
	v_mov_b32_e32 v23, v2
	v_fmac_f32_e32 v3, 0x4f800000, v16
	v_rcp_f32_e32 v3, v3
	s_nop 0
	v_mul_f32_e32 v3, 0x5f7ffffc, v3
	v_mul_f32_e32 v16, 0x2f800000, v3
	v_trunc_f32_e32 v16, v16
	v_fmac_f32_e32 v3, 0xcf800000, v16
	v_cvt_u32_f32_e32 v16, v16
	v_cvt_u32_f32_e32 v3, v3
	v_readfirstlane_b32 s21, v16
	v_readfirstlane_b32 s0, v3
	s_mul_i32 s1, s4, s21
	s_mul_hi_u32 s41, s4, s0
	s_mul_i32 s40, s5, s0
	s_add_i32 s1, s41, s1
	s_mul_i32 s42, s4, s0
	s_add_i32 s1, s1, s40
	s_mul_i32 s41, s0, s1
	s_mul_hi_u32 s43, s0, s42
	s_mul_hi_u32 s40, s0, s1
	s_add_u32 s41, s43, s41
	s_addc_u32 s40, 0, s40
	s_mul_hi_u32 s44, s21, s42
	s_mul_i32 s42, s21, s42
	s_add_u32 s41, s41, s42
	s_mul_hi_u32 s43, s21, s1
	s_addc_u32 s40, s40, s44
	s_addc_u32 s41, s43, 0
	s_mul_i32 s1, s21, s1
	s_add_u32 s1, s40, s1
	s_addc_u32 s40, 0, s41
	s_add_u32 s41, s0, s1
	s_cselect_b64 s[0:1], -1, 0
	s_cmp_lg_u64 s[0:1], 0
	s_addc_u32 s21, s21, s40
	s_mul_i32 s0, s4, s21
	s_mul_hi_u32 s1, s4, s41
	s_add_i32 s0, s1, s0
	s_mul_i32 s5, s5, s41
	s_add_i32 s0, s0, s5
	s_mul_i32 s4, s4, s41
	s_mul_hi_u32 s5, s21, s4
	s_mul_i32 s40, s21, s4
	s_mul_i32 s43, s41, s0
	s_mul_hi_u32 s4, s41, s4
	s_mul_hi_u32 s42, s41, s0
	s_add_u32 s4, s4, s43
	s_addc_u32 s42, 0, s42
	s_add_u32 s4, s4, s40
	s_mul_hi_u32 s1, s21, s0
	s_addc_u32 s4, s42, s5
	s_addc_u32 s1, s1, 0
	s_mul_i32 s0, s21, s0
	s_add_u32 s0, s4, s0
	s_addc_u32 s4, 0, s1
	s_add_u32 s5, s41, s0
	s_cselect_b64 s[0:1], -1, 0
	s_cmp_lg_u64 s[0:1], 0
	s_addc_u32 s4, s21, s4
	v_mad_u64_u32 v[16:17], s[0:1], v19, s4, 0
	v_mul_hi_u32 v22, v19, s5
	v_lshl_add_u64 v[16:17], v[22:23], 0, v[16:17]
	v_mad_u64_u32 v[24:25], s[0:1], v20, s5, 0
	v_add_co_u32_e32 v3, vcc, v16, v24
	v_mad_u64_u32 v[22:23], s[0:1], v20, s4, 0
	s_nop 0
	v_addc_co_u32_e32 v16, vcc, v17, v25, vcc
	v_mov_b32_e32 v17, v2
	s_nop 0
	v_addc_co_u32_e32 v23, vcc, 0, v23, vcc
	v_lshl_add_u64 v[16:17], v[16:17], 0, v[22:23]
	v_mul_lo_u32 v3, s57, v16
	v_mul_lo_u32 v21, s58, v17
	v_mad_u64_u32 v[22:23], s[0:1], s58, v16, 0
	v_add3_u32 v3, v23, v21, v3
	v_sub_u32_e32 v21, v20, v3
	v_mov_b32_e32 v23, s57
	v_sub_co_u32_e32 v19, vcc, v19, v22
	v_lshl_add_u64 v[24:25], v[16:17], 0, 1
	s_nop 0
	v_subb_co_u32_e64 v21, s[0:1], v21, v23, vcc
	v_subrev_co_u32_e64 v22, s[0:1], s58, v19
	v_subb_co_u32_e32 v3, vcc, v20, v3, vcc
	s_nop 0
	v_subbrev_co_u32_e64 v21, s[0:1], 0, v21, s[0:1]
	v_cmp_le_u32_e64 s[0:1], s57, v21
	v_cmp_le_u32_e32 vcc, s57, v3
	s_nop 0
	v_cndmask_b32_e64 v23, 0, -1, s[0:1]
	v_cmp_le_u32_e64 s[0:1], s58, v22
	v_cndmask_b32_e64 v20, 0, -1, vcc
	v_cmp_le_u32_e32 vcc, s58, v19
	v_cndmask_b32_e64 v22, 0, -1, s[0:1]
	v_cmp_eq_u32_e64 s[0:1], s57, v21
	v_cndmask_b32_e64 v19, 0, -1, vcc
	v_cmp_eq_u32_e32 vcc, s57, v3
	v_cndmask_b32_e64 v21, v23, v22, s[0:1]
	v_lshl_add_u64 v[22:23], v[16:17], 0, 2
	v_cmp_ne_u32_e64 s[0:1], 0, v21
	v_cndmask_b32_e32 v3, v20, v19, vcc
	v_cmp_ne_u32_e32 vcc, 0, v3
	v_cndmask_b32_e64 v21, v25, v23, s[0:1]
	v_cndmask_b32_e64 v3, v24, v22, s[0:1]
	v_cndmask_b32_e32 v17, v17, v21, vcc
	v_cndmask_b32_e32 v16, v16, v3, vcc
                                        ; implicit-def: $vgpr19
.LBB7_18:                               ;   in Loop: Header=BB7_4 Depth=1
	s_andn2_saveexec_b64 s[0:1], s[2:3]
	s_cbranch_execz .LBB7_20
; %bb.19:                               ;   in Loop: Header=BB7_4 Depth=1
	v_cvt_f32_u32_e32 v3, s58
	s_sub_i32 s2, 0, s58
	v_rcp_iflag_f32_e32 v3, v3
	s_nop 0
	v_mul_f32_e32 v3, 0x4f7ffffe, v3
	v_cvt_u32_f32_e32 v3, v3
	v_mul_lo_u32 v16, s2, v3
	v_mul_hi_u32 v16, v3, v16
	v_add_u32_e32 v3, v3, v16
	v_mul_hi_u32 v3, v19, v3
	v_mul_lo_u32 v16, v3, s58
	v_sub_u32_e32 v16, v19, v16
	v_add_u32_e32 v17, 1, v3
	v_subrev_u32_e32 v19, s58, v16
	v_cmp_le_u32_e32 vcc, s58, v16
	s_nop 1
	v_cndmask_b32_e32 v16, v16, v19, vcc
	v_cndmask_b32_e32 v3, v3, v17, vcc
	v_add_u32_e32 v17, 1, v3
	v_cmp_le_u32_e32 vcc, s58, v16
	s_nop 1
	v_cndmask_b32_e32 v16, v3, v17, vcc
	v_mov_b32_e32 v17, v2
.LBB7_20:                               ;   in Loop: Header=BB7_4 Depth=1
	s_or_b64 exec, exec, s[0:1]
	v_lshl_add_u64 v[10:11], v[12:13], 0, v[10:11]
	v_mul_lo_u32 v3, v10, s11
	v_mul_lo_u32 v12, v11, s10
	v_mad_u64_u32 v[10:11], s[0:1], v10, s10, v[8:9]
	v_add3_u32 v3, v12, v11, v3
	v_add_u32_e32 v11, s53, v8
	v_lshl_add_u64 v[8:9], v[16:17], 0, v[14:15]
	v_mul_lo_u32 v14, v8, s15
	v_mul_lo_u32 v9, v9, s14
	v_mad_u64_u32 v[12:13], s[0:1], v8, s14, v[6:7]
	v_add3_u32 v13, v9, v13, v14
	v_min_i32_e32 v11, s20, v11
	v_mul_lo_u32 v3, v3, s22
	v_mad_u64_u32 v[8:9], s[0:1], v10, s22, v[12:13]
	v_mul_lo_u32 v7, v10, s23
	v_add3_u32 v9, v3, v9, v7
	v_cmp_gt_i32_e32 vcc, v11, v10
	v_mov_b32_e32 v16, 0xff800000
	s_and_saveexec_b64 s[40:41], vcc
	s_cbranch_execz .LBB7_3
; %bb.21:                               ;   in Loop: Header=BB7_4 Depth=1
	v_add_u32_e32 v3, s54, v6
	v_mov_b64_e32 v[6:7], s[18:19]
	v_min_i32_e32 v17, s22, v3
	v_mad_u64_u32 v[6:7], s[0:1], s34, v4, v[6:7]
	v_mul_lo_u32 v5, s34, v5
	v_mul_lo_u32 v4, s35, v4
	v_ashrrev_i32_e32 v3, 31, v10
	v_cmp_gt_i32_e32 vcc, v17, v12
	v_add3_u32 v7, v4, v7, v5
	v_mov_b32_e32 v16, 0xff800000
	s_mov_b64 s[42:43], 0
	s_branch .LBB7_23
.LBB7_22:                               ;   in Loop: Header=BB7_23 Depth=2
	s_or_b64 exec, exec, s[44:45]
	v_add_u32_e32 v10, s6, v10
	v_cmp_ge_i32_e64 s[0:1], v10, v11
	s_or_b64 s[42:43], s[0:1], s[42:43]
	v_ashrrev_i32_e32 v3, 31, v10
	s_andn2_b64 exec, exec, s[42:43]
	s_cbranch_execz .LBB7_2
.LBB7_23:                               ;   Parent Loop BB7_4 Depth=1
                                        ; =>  This Loop Header: Depth=2
                                        ;       Child Loop BB7_25 Depth 3
	s_and_saveexec_b64 s[44:45], vcc
	s_cbranch_execz .LBB7_22
; %bb.24:                               ;   in Loop: Header=BB7_23 Depth=2
	v_ashrrev_i32_e32 v13, 31, v12
	v_mul_lo_u32 v14, v10, s23
	v_mul_lo_u32 v3, v3, s22
	v_mad_u64_u32 v[4:5], s[0:1], v10, s22, v[12:13]
	v_add3_u32 v5, v3, v5, v14
	v_lshl_add_u64 v[14:15], v[4:5], 2, v[6:7]
	s_mov_b64 s[46:47], 0
	v_mov_b32_e32 v3, v12
.LBB7_25:                               ;   Parent Loop BB7_4 Depth=1
                                        ;     Parent Loop BB7_23 Depth=2
                                        ; =>    This Inner Loop Header: Depth=3
	global_load_dword v13, v[14:15], off
	v_add_u32_e32 v3, s7, v3
	v_cmp_ge_i32_e64 s[0:1], v3, v17
	v_lshl_add_u64 v[14:15], v[14:15], 0, s[36:37]
	s_waitcnt vmcnt(0)
	v_cmp_gt_f32_e64 s[2:3], v13, v16
	v_cmp_u_f32_e64 s[4:5], v13, v13
	s_or_b64 s[2:3], s[2:3], s[4:5]
	v_cndmask_b32_e64 v16, v16, v13, s[2:3]
	v_cndmask_b32_e64 v9, v9, v5, s[2:3]
	;; [unrolled: 1-line block ×3, first 2 shown]
	s_or_b64 s[46:47], s[0:1], s[46:47]
	v_lshl_add_u64 v[4:5], v[4:5], 0, s[14:15]
	s_andn2_b64 exec, exec, s[46:47]
	s_cbranch_execnz .LBB7_25
; %bb.26:                               ;   in Loop: Header=BB7_23 Depth=2
	s_or_b64 exec, exec, s[46:47]
	s_branch .LBB7_22
.LBB7_27:
	s_endpgm
	.section	.rodata,"a",@progbits
	.p2align	6, 0x0
	.amdhsa_kernel _ZN2at6native12_GLOBAL__N_121max_pool_forward_nchwIflEEvT0_PKT_llliiiiiiiiiiPS4_Pl
		.amdhsa_group_segment_fixed_size 0
		.amdhsa_private_segment_fixed_size 0
		.amdhsa_kernarg_size 352
		.amdhsa_user_sgpr_count 2
		.amdhsa_user_sgpr_dispatch_ptr 0
		.amdhsa_user_sgpr_queue_ptr 0
		.amdhsa_user_sgpr_kernarg_segment_ptr 1
		.amdhsa_user_sgpr_dispatch_id 0
		.amdhsa_user_sgpr_kernarg_preload_length 0
		.amdhsa_user_sgpr_kernarg_preload_offset 0
		.amdhsa_user_sgpr_private_segment_size 0
		.amdhsa_uses_dynamic_stack 0
		.amdhsa_enable_private_segment 0
		.amdhsa_system_sgpr_workgroup_id_x 1
		.amdhsa_system_sgpr_workgroup_id_y 0
		.amdhsa_system_sgpr_workgroup_id_z 0
		.amdhsa_system_sgpr_workgroup_info 0
		.amdhsa_system_vgpr_workitem_id 0
		.amdhsa_next_free_vgpr 26
		.amdhsa_next_free_sgpr 59
		.amdhsa_accum_offset 28
		.amdhsa_reserve_vcc 1
		.amdhsa_float_round_mode_32 0
		.amdhsa_float_round_mode_16_64 0
		.amdhsa_float_denorm_mode_32 3
		.amdhsa_float_denorm_mode_16_64 3
		.amdhsa_dx10_clamp 1
		.amdhsa_ieee_mode 1
		.amdhsa_fp16_overflow 0
		.amdhsa_tg_split 0
		.amdhsa_exception_fp_ieee_invalid_op 0
		.amdhsa_exception_fp_denorm_src 0
		.amdhsa_exception_fp_ieee_div_zero 0
		.amdhsa_exception_fp_ieee_overflow 0
		.amdhsa_exception_fp_ieee_underflow 0
		.amdhsa_exception_fp_ieee_inexact 0
		.amdhsa_exception_int_div_zero 0
	.end_amdhsa_kernel
	.section	.text._ZN2at6native12_GLOBAL__N_121max_pool_forward_nchwIflEEvT0_PKT_llliiiiiiiiiiPS4_Pl,"axG",@progbits,_ZN2at6native12_GLOBAL__N_121max_pool_forward_nchwIflEEvT0_PKT_llliiiiiiiiiiPS4_Pl,comdat
.Lfunc_end7:
	.size	_ZN2at6native12_GLOBAL__N_121max_pool_forward_nchwIflEEvT0_PKT_llliiiiiiiiiiPS4_Pl, .Lfunc_end7-_ZN2at6native12_GLOBAL__N_121max_pool_forward_nchwIflEEvT0_PKT_llliiiiiiiiiiPS4_Pl
                                        ; -- End function
	.set _ZN2at6native12_GLOBAL__N_121max_pool_forward_nchwIflEEvT0_PKT_llliiiiiiiiiiPS4_Pl.num_vgpr, 26
	.set _ZN2at6native12_GLOBAL__N_121max_pool_forward_nchwIflEEvT0_PKT_llliiiiiiiiiiPS4_Pl.num_agpr, 0
	.set _ZN2at6native12_GLOBAL__N_121max_pool_forward_nchwIflEEvT0_PKT_llliiiiiiiiiiPS4_Pl.numbered_sgpr, 59
	.set _ZN2at6native12_GLOBAL__N_121max_pool_forward_nchwIflEEvT0_PKT_llliiiiiiiiiiPS4_Pl.num_named_barrier, 0
	.set _ZN2at6native12_GLOBAL__N_121max_pool_forward_nchwIflEEvT0_PKT_llliiiiiiiiiiPS4_Pl.private_seg_size, 0
	.set _ZN2at6native12_GLOBAL__N_121max_pool_forward_nchwIflEEvT0_PKT_llliiiiiiiiiiPS4_Pl.uses_vcc, 1
	.set _ZN2at6native12_GLOBAL__N_121max_pool_forward_nchwIflEEvT0_PKT_llliiiiiiiiiiPS4_Pl.uses_flat_scratch, 0
	.set _ZN2at6native12_GLOBAL__N_121max_pool_forward_nchwIflEEvT0_PKT_llliiiiiiiiiiPS4_Pl.has_dyn_sized_stack, 0
	.set _ZN2at6native12_GLOBAL__N_121max_pool_forward_nchwIflEEvT0_PKT_llliiiiiiiiiiPS4_Pl.has_recursion, 0
	.set _ZN2at6native12_GLOBAL__N_121max_pool_forward_nchwIflEEvT0_PKT_llliiiiiiiiiiPS4_Pl.has_indirect_call, 0
	.section	.AMDGPU.csdata,"",@progbits
; Kernel info:
; codeLenInByte = 4080
; TotalNumSgprs: 65
; NumVgprs: 26
; NumAgprs: 0
; TotalNumVgprs: 26
; ScratchSize: 0
; MemoryBound: 0
; FloatMode: 240
; IeeeMode: 1
; LDSByteSize: 0 bytes/workgroup (compile time only)
; SGPRBlocks: 8
; VGPRBlocks: 3
; NumSGPRsForWavesPerEU: 65
; NumVGPRsForWavesPerEU: 26
; AccumOffset: 28
; Occupancy: 8
; WaveLimiterHint : 0
; COMPUTE_PGM_RSRC2:SCRATCH_EN: 0
; COMPUTE_PGM_RSRC2:USER_SGPR: 2
; COMPUTE_PGM_RSRC2:TRAP_HANDLER: 0
; COMPUTE_PGM_RSRC2:TGID_X_EN: 1
; COMPUTE_PGM_RSRC2:TGID_Y_EN: 0
; COMPUTE_PGM_RSRC2:TGID_Z_EN: 0
; COMPUTE_PGM_RSRC2:TIDIG_COMP_CNT: 0
; COMPUTE_PGM_RSRC3_GFX90A:ACCUM_OFFSET: 6
; COMPUTE_PGM_RSRC3_GFX90A:TG_SPLIT: 0
	.section	.text._ZN2at6native12_GLOBAL__N_121max_pool_forward_nhwcIN3c104HalfEiEEvPKT_iT0_S8_S8_S8_S8_iiiiiiiiS8_S8_S8_S8_iiPS5_Pl,"axG",@progbits,_ZN2at6native12_GLOBAL__N_121max_pool_forward_nhwcIN3c104HalfEiEEvPKT_iT0_S8_S8_S8_S8_iiiiiiiiS8_S8_S8_S8_iiPS5_Pl,comdat
	.globl	_ZN2at6native12_GLOBAL__N_121max_pool_forward_nhwcIN3c104HalfEiEEvPKT_iT0_S8_S8_S8_S8_iiiiiiiiS8_S8_S8_S8_iiPS5_Pl ; -- Begin function _ZN2at6native12_GLOBAL__N_121max_pool_forward_nhwcIN3c104HalfEiEEvPKT_iT0_S8_S8_S8_S8_iiiiiiiiS8_S8_S8_S8_iiPS5_Pl
	.p2align	8
	.type	_ZN2at6native12_GLOBAL__N_121max_pool_forward_nhwcIN3c104HalfEiEEvPKT_iT0_S8_S8_S8_S8_iiiiiiiiS8_S8_S8_S8_iiPS5_Pl,@function
_ZN2at6native12_GLOBAL__N_121max_pool_forward_nhwcIN3c104HalfEiEEvPKT_iT0_S8_S8_S8_S8_iiiiiiiiS8_S8_S8_S8_iiPS5_Pl: ; @_ZN2at6native12_GLOBAL__N_121max_pool_forward_nhwcIN3c104HalfEiEEvPKT_iT0_S8_S8_S8_S8_iiiiiiiiS8_S8_S8_S8_iiPS5_Pl
; %bb.0:
	s_load_dwordx4 s[8:11], s[0:1], 0x6c
	s_load_dwordx4 s[28:31], s[0:1], 0x48
	v_bfe_u32 v2, v0, 10, 10
	v_bfe_u32 v3, v0, 20, 10
	v_and_b32_e32 v8, 0x3ff, v0
	s_waitcnt lgkmcnt(0)
	s_and_b32 s36, s10, 0xffff
	s_lshr_b32 s56, s10, 16
	s_mul_i32 s37, s31, s36
	s_and_b32 s33, s11, 0xffff
	s_mul_i32 s5, s37, s56
	v_mad_u32_u24 v9, v3, s56, v2
	s_mul_i32 s5, s5, s33
	v_mad_u64_u32 v[0:1], s[6:7], v9, s36, v[8:9]
	v_cmp_gt_u32_e32 vcc, s5, v0
	s_and_saveexec_b64 s[6:7], vcc
	s_cbranch_execz .LBB8_3
; %bb.1:
	s_mul_i32 s12, s56, s36
	s_lshl_b32 s10, s5, 2
	s_mul_i32 s12, s12, s33
	s_add_i32 s10, s10, 0
	v_lshl_add_u32 v1, v0, 1, s10
	s_lshl_b32 s13, s12, 1
	v_lshl_add_u32 v4, v0, 2, 0
	s_lshl_b32 s14, s12, 2
	s_mov_b64 s[10:11], 0
	v_mov_b32_e32 v5, 0xfffffc00
	v_mov_b32_e32 v6, 0
.LBB8_2:                                ; =>This Inner Loop Header: Depth=1
	v_add_u32_e32 v0, s12, v0
	v_cmp_le_u32_e32 vcc, s5, v0
	ds_write_b16 v1, v5
	ds_write_b32 v4, v6
	v_add_u32_e32 v1, s13, v1
	s_or_b64 s[10:11], vcc, s[10:11]
	v_add_u32_e32 v4, s14, v4
	s_andn2_b64 exec, exec, s[10:11]
	s_cbranch_execnz .LBB8_2
.LBB8_3:
	s_or_b64 exec, exec, s[6:7]
	v_cvt_f32_u32_e32 v0, s9
	s_load_dwordx16 s[12:27], s[0:1], 0x8
	s_sub_i32 s6, 0, s9
	s_waitcnt lgkmcnt(0)
	v_rcp_iflag_f32_e32 v0, v0
	s_barrier
	s_add_i32 s7, s16, s9
	s_add_i32 s7, s7, -1
	v_mul_f32_e32 v0, 0x4f7ffffe, v0
	v_cvt_u32_f32_e32 v0, v0
	v_cvt_f32_u32_e32 v1, s12
	v_readfirstlane_b32 s10, v0
	s_mul_i32 s6, s6, s10
	s_mul_hi_u32 s11, s10, s6
	v_cvt_f32_u32_e32 v0, s8
	s_add_i32 s10, s10, s11
	s_mul_hi_u32 s10, s7, s10
	s_mul_i32 s11, s10, s9
	s_sub_i32 s7, s7, s11
	v_rcp_iflag_f32_e32 v0, v0
	s_add_i32 s11, s10, 1
	s_sub_i32 s34, s7, s9
	v_rcp_iflag_f32_e32 v1, v1
	s_cmp_ge_u32 s7, s9
	s_cselect_b32 s10, s11, s10
	s_cselect_b32 s7, s34, s7
	v_mul_f32_e32 v0, 0x4f7ffffe, v0
	s_add_i32 s11, s10, 1
	v_cvt_u32_f32_e32 v0, v0
	s_cmp_ge_u32 s7, s9
	v_mul_f32_e32 v1, 0x4f7ffffe, v1
	s_cselect_b32 s9, s11, s10
	v_cvt_u32_f32_e32 v1, v1
	s_mul_i32 s4, s9, s4
	v_add_u32_e32 v3, s4, v3
	v_readfirstlane_b32 s7, v0
	v_add_u32_e32 v0, s9, v3
	v_min_i32_e32 v24, s16, v0
	v_readfirstlane_b32 s6, v1
	v_cmp_lt_i32_e32 vcc, v3, v24
	s_and_saveexec_b64 s[10:11], vcc
	s_cbranch_execz .LBB8_74
; %bb.4:
	s_sub_i32 s4, 0, s12
	s_mul_i32 s4, s4, s6
	s_mul_hi_u32 s4, s6, s4
	s_add_i32 s6, s6, s4
	s_mul_hi_u32 s4, s2, s6
	s_add_i32 s6, s17, s8
	s_add_i32 s9, s6, -1
	s_sub_i32 s6, 0, s8
	s_mul_i32 s6, s6, s7
	s_lshl_b32 s5, s5, 2
	s_mul_hi_u32 s6, s7, s6
	s_add_i32 s41, s5, 0
	s_mul_i32 s5, s4, s12
	s_add_i32 s7, s7, s6
	s_sub_i32 s5, s2, s5
	s_mul_hi_u32 s40, s9, s7
	s_add_i32 s6, s4, 1
	s_sub_i32 s7, s5, s12
	s_cmp_ge_u32 s5, s12
	s_cselect_b32 s4, s6, s4
	s_cselect_b32 s5, s7, s5
	s_add_i32 s6, s4, 1
	s_cmp_ge_u32 s5, s12
	s_cselect_b32 s4, s6, s4
	s_mul_i32 s5, s4, s12
	s_mul_i32 s4, s4, s36
	s_load_dwordx2 s[10:11], s[0:1], 0x0
	v_add_u32_e32 v0, s4, v8
	s_mul_i32 s4, s16, s13
	s_sub_i32 s2, s2, s5
	s_mul_i32 s4, s4, s17
	s_mul_i32 s34, s4, s2
	;; [unrolled: 1-line block ×3, first 2 shown]
	s_ashr_i32 s5, s4, 31
	s_ashr_i32 s35, s34, 31
	s_lshl_b64 s[38:39], s[4:5], 1
	s_load_dwordx4 s[4:7], s[0:1], 0x58
	s_waitcnt lgkmcnt(0)
	s_add_u32 s10, s10, s38
	s_mul_i32 s0, s40, s8
	s_addc_u32 s11, s11, s39
	s_sub_i32 s0, s9, s0
	s_add_i32 s1, s40, 1
	s_sub_i32 s2, s0, s8
	s_cmp_ge_u32 s0, s8
	s_cselect_b32 s1, s1, s40
	s_cselect_b32 s0, s2, s0
	s_add_i32 s2, s1, 1
	s_cmp_ge_u32 s0, s8
	s_cselect_b32 s0, s2, s1
	s_mul_i32 s1, s0, s3
	v_add_u32_e32 v2, s1, v2
	v_add_u32_e32 v4, s0, v2
	s_add_i32 s0, s18, -1
	s_add_i32 s2, s19, -1
	s_mul_i32 s12, s24, s0
	s_mul_i32 s57, s25, s2
	s_add_i32 s12, s12, 1
	s_add_i32 s57, s57, 1
	s_max_i32 s2, s18, s19
	s_cmp_lt_i32 s2, 4
	s_mul_i32 s16, s30, s36
	s_cselect_b64 s[2:3], -1, 0
	s_cmp_le_u32 s13, s16
	s_cselect_b64 s[8:9], -1, 0
	s_max_u32 s58, s24, 1
	v_cvt_f32_u32_e32 v11, s58
	v_mul_lo_u32 v1, s37, v9
	v_min_i32_e32 v25, s17, v4
	v_mul_lo_u32 v4, v0, s27
	v_rcp_iflag_f32_e32 v11, v11
	v_lshlrev_b32_e32 v10, 1, v1
	v_ashrrev_i32_e32 v5, 31, v4
	v_lshlrev_b32_e32 v12, 1, v8
	v_lshl_add_u64 v[6:7], v[4:5], 1, s[10:11]
	v_add3_u32 v5, s41, v10, v12
	v_mul_f32_e32 v10, 0x4f7ffffe, v11
	v_cvt_u32_f32_e32 v10, v10
	v_lshlrev_b32_e32 v1, 2, v1
	s_and_b64 s[18:19], s[2:3], s[8:9]
	v_lshlrev_b32_e32 v8, 2, v8
	s_sub_i32 s8, 0, s58
	v_add3_u32 v26, 0, v1, v8
	v_mul_lo_u32 v1, s8, v10
	v_mul_hi_u32 v1, v10, v1
	v_add_u32_e32 v27, v10, v1
	s_mul_i32 s8, s56, s33
	v_lshlrev_b32_e32 v1, 1, v9
	v_lshl_add_u32 v1, s8, 2, v1
	v_mul_lo_u32 v1, s31, v1
	v_mul_lo_u32 v1, v1, s36
	v_add3_u32 v29, v1, v12, 0
	v_mul_lo_u32 v1, s31, v9
	s_lshl_b32 s59, s25, 1
	s_lshl_b32 s61, s36, 1
	v_mul_lo_u32 v1, v1, s36
	s_lshl_b32 s62, s36, 2
	s_lshl_b64 s[8:9], s[34:35], 1
	v_lshlrev_b32_e32 v1, 2, v1
	s_add_u32 s4, s4, s8
	v_add3_u32 v30, v1, v8, 0
	v_ashrrev_i32_e32 v1, 31, v0
	s_addc_u32 s5, s5, s9
	v_lshl_add_u64 v[8:9], v[0:1], 1, s[4:5]
	v_mad_u64_u32 v[10:11], s[4:5], s17, v3, v[2:3]
	s_mul_i32 s63, s17, s13
	s_ashr_i32 s17, s16, 31
	s_mul_i32 s60, s16, s27
	s_lshl_b64 s[26:27], s[16:17], 1
	s_lshl_b64 s[4:5], s[34:35], 3
	s_add_u32 s4, s6, s4
	s_addc_u32 s5, s7, s5
	v_cmp_lt_i32_e64 s[0:1], v2, v25
	v_cmp_gt_i32_e64 s[2:3], s13, v0
	v_mov_b32_e32 v28, 0
	v_mul_lo_u32 v31, s13, v10
	s_mul_i32 s63, s63, s33
	s_mul_i32 s64, s13, s56
	v_lshl_add_u64 v[10:11], v[0:1], 3, s[4:5]
	s_lshl_b64 s[30:31], s[16:17], 3
	s_mov_b64 s[34:35], 0
	v_mov_b32_e32 v1, 0xfffffc00
	s_branch .LBB8_6
.LBB8_5:                                ;   in Loop: Header=BB8_6 Depth=1
	s_or_b64 exec, exec, s[36:37]
	v_add_u32_e32 v3, s33, v3
	v_cmp_ge_i32_e32 vcc, v3, v24
	s_or_b64 s[34:35], vcc, s[34:35]
	v_add_u32_e32 v31, s63, v31
	s_andn2_b64 exec, exec, s[34:35]
	s_cbranch_execz .LBB8_74
.LBB8_6:                                ; =>This Loop Header: Depth=1
                                        ;     Child Loop BB8_9 Depth 2
                                        ;       Child Loop BB8_10 Depth 3
                                        ;       Child Loop BB8_63 Depth 3
                                        ;         Child Loop BB8_66 Depth 4
                                        ;           Child Loop BB8_69 Depth 5
                                        ;       Child Loop BB8_73 Depth 3
	s_and_saveexec_b64 s[36:37], s[0:1]
	s_cbranch_execz .LBB8_5
; %bb.7:                                ;   in Loop: Header=BB8_6 Depth=1
	v_mul_lo_u32 v12, v3, s20
	v_subrev_u32_e32 v12, s22, v12
	v_add_u32_e32 v13, s12, v12
	v_min_i32_e32 v32, s14, v13
	s_mov_b64 s[38:39], 0
	v_mov_b32_e32 v14, v31
	v_mov_b32_e32 v33, v2
	s_branch .LBB8_9
.LBB8_8:                                ;   in Loop: Header=BB8_9 Depth=2
	s_or_b64 exec, exec, s[4:5]
	v_add_u32_e32 v33, s56, v33
	v_cmp_ge_i32_e32 vcc, v33, v25
	s_or_b64 s[38:39], vcc, s[38:39]
	v_add_u32_e32 v14, s64, v14
	s_andn2_b64 exec, exec, s[38:39]
	s_cbranch_execz .LBB8_5
.LBB8_9:                                ;   Parent Loop BB8_6 Depth=1
                                        ; =>  This Loop Header: Depth=2
                                        ;       Child Loop BB8_10 Depth 3
                                        ;       Child Loop BB8_63 Depth 3
                                        ;         Child Loop BB8_66 Depth 4
                                        ;           Child Loop BB8_69 Depth 5
                                        ;       Child Loop BB8_73 Depth 3
	v_mul_lo_u32 v13, v33, s21
	v_subrev_u32_e32 v13, s23, v13
	s_mov_b64 s[4:5], 0
	v_mov_b32_e32 v35, v13
.LBB8_10:                               ;   Parent Loop BB8_6 Depth=1
                                        ;     Parent Loop BB8_9 Depth=2
                                        ; =>    This Inner Loop Header: Depth=3
	v_mov_b32_e32 v15, v35
	v_cmp_lt_i32_e32 vcc, -1, v15
	s_or_b64 s[4:5], vcc, s[4:5]
	v_add_u32_e32 v35, s25, v15
	s_andn2_b64 exec, exec, s[4:5]
	s_cbranch_execnz .LBB8_10
; %bb.11:                               ;   in Loop: Header=BB8_9 Depth=2
	s_or_b64 exec, exec, s[4:5]
	v_lshrrev_b32_e32 v17, 31, v12
	s_waitcnt vmcnt(0)
	v_max_i32_e32 v16, 0, v12
	v_add_u32_e32 v18, v12, v17
	v_sub_u32_e32 v16, v16, v18
	v_mul_hi_u32 v18, v16, v27
	v_mul_lo_u32 v19, v18, s58
	v_sub_u32_e32 v16, v16, v19
	v_add_u32_e32 v19, 1, v18
	v_cmp_le_u32_e32 vcc, s58, v16
	v_add_u32_e32 v13, s57, v13
	v_min_i32_e32 v34, s15, v13
	v_cndmask_b32_e32 v18, v18, v19, vcc
	v_subrev_u32_e32 v19, s58, v16
	v_cndmask_b32_e32 v16, v16, v19, vcc
	v_add_u32_e32 v19, 1, v18
	v_cmp_le_u32_e32 vcc, s58, v16
	s_nop 1
	v_cndmask_b32_e32 v16, v18, v19, vcc
	v_add_u32_e32 v16, v17, v16
	v_mad_u64_u32 v[12:13], s[4:5], s24, v16, v[12:13]
	s_mov_b64 s[4:5], -1
	s_and_b64 vcc, exec, s[18:19]
	v_cmp_lt_i32_e64 s[8:9], v12, v32
	s_cbranch_vccnz .LBB8_14
; %bb.12:                               ;   in Loop: Header=BB8_9 Depth=2
	s_and_b64 vcc, exec, s[4:5]
	s_cbranch_vccnz .LBB8_60
.LBB8_13:                               ;   in Loop: Header=BB8_9 Depth=2
	s_and_saveexec_b64 s[4:5], s[2:3]
	s_cbranch_execz .LBB8_8
	s_branch .LBB8_72
.LBB8_14:                               ;   in Loop: Header=BB8_9 Depth=2
	v_mul_lo_u32 v16, v12, s28
	v_ashrrev_i32_e32 v17, 31, v16
	v_cmp_lt_i32_e32 vcc, v15, v34
	v_lshl_add_u64 v[22:23], v[16:17], 1, v[6:7]
	s_and_b64 s[4:5], s[8:9], vcc
	v_mul_lo_u32 v16, v15, s29
	s_and_b64 s[44:45], s[2:3], s[4:5]
	v_mov_b32_e32 v36, 0
	v_ashrrev_i32_e32 v17, 31, v16
	v_mov_b32_e32 v41, 0
	s_and_saveexec_b64 s[4:5], s[44:45]
	s_cbranch_execz .LBB8_16
; %bb.15:                               ;   in Loop: Header=BB8_9 Depth=2
	v_lshl_add_u64 v[18:19], v[16:17], 1, v[22:23]
	global_load_ushort v41, v[18:19], off
.LBB8_16:                               ;   in Loop: Header=BB8_9 Depth=2
	s_or_b64 exec, exec, s[4:5]
	v_cmp_lt_i32_e64 s[4:5], v35, v34
	s_and_b64 s[6:7], s[8:9], s[4:5]
	v_mul_lo_u32 v18, v35, s29
	s_and_b64 s[46:47], s[2:3], s[6:7]
	v_ashrrev_i32_e32 v19, 31, v18
	s_and_saveexec_b64 s[6:7], s[46:47]
	s_cbranch_execz .LBB8_18
; %bb.17:                               ;   in Loop: Header=BB8_9 Depth=2
	v_lshl_add_u64 v[20:21], v[18:19], 1, v[22:23]
	global_load_ushort v36, v[20:21], off
.LBB8_18:                               ;   in Loop: Header=BB8_9 Depth=2
	s_or_b64 exec, exec, s[6:7]
	v_add_u32_e32 v13, s59, v15
	v_cmp_lt_i32_e64 s[6:7], v13, v34
	s_and_b64 s[8:9], s[8:9], s[6:7]
	v_mul_lo_u32 v20, v13, s29
	s_and_b64 s[48:49], s[2:3], s[8:9]
	v_mov_b32_e32 v37, 0
	v_ashrrev_i32_e32 v21, 31, v20
	v_mov_b32_e32 v43, 0
	s_and_saveexec_b64 s[8:9], s[48:49]
	s_cbranch_execz .LBB8_20
; %bb.19:                               ;   in Loop: Header=BB8_9 Depth=2
	v_lshl_add_u64 v[22:23], v[20:21], 1, v[22:23]
	global_load_ushort v43, v[22:23], off
.LBB8_20:                               ;   in Loop: Header=BB8_9 Depth=2
	s_or_b64 exec, exec, s[8:9]
	v_add_u32_e32 v45, s24, v12
	v_mul_lo_u32 v22, v45, s28
	v_cmp_lt_i32_e64 s[8:9], v45, v32
	v_ashrrev_i32_e32 v23, 31, v22
	s_and_b64 s[40:41], s[8:9], vcc
	v_lshl_add_u64 v[22:23], v[22:23], 1, v[6:7]
	s_and_b64 s[54:55], s[2:3], s[40:41]
	s_and_saveexec_b64 s[40:41], s[54:55]
	s_cbranch_execz .LBB8_22
; %bb.21:                               ;   in Loop: Header=BB8_9 Depth=2
	v_lshl_add_u64 v[38:39], v[16:17], 1, v[22:23]
	global_load_ushort v37, v[38:39], off
.LBB8_22:                               ;   in Loop: Header=BB8_9 Depth=2
	s_or_b64 exec, exec, s[40:41]
	s_and_b64 s[40:41], s[8:9], s[4:5]
	s_and_b64 s[52:53], s[2:3], s[40:41]
	v_mov_b32_e32 v39, 0
	v_mov_b32_e32 v42, 0
	s_and_saveexec_b64 s[40:41], s[52:53]
	s_cbranch_execz .LBB8_24
; %bb.23:                               ;   in Loop: Header=BB8_9 Depth=2
	v_lshl_add_u64 v[46:47], v[18:19], 1, v[22:23]
	global_load_ushort v42, v[46:47], off
.LBB8_24:                               ;   in Loop: Header=BB8_9 Depth=2
	s_or_b64 exec, exec, s[40:41]
	s_and_b64 s[8:9], s[8:9], s[6:7]
	s_and_b64 s[42:43], s[2:3], s[8:9]
	s_and_saveexec_b64 s[8:9], s[42:43]
	s_cbranch_execz .LBB8_26
; %bb.25:                               ;   in Loop: Header=BB8_9 Depth=2
	v_lshl_add_u64 v[22:23], v[20:21], 1, v[22:23]
	global_load_ushort v39, v[22:23], off
.LBB8_26:                               ;   in Loop: Header=BB8_9 Depth=2
	s_or_b64 exec, exec, s[8:9]
	v_add_u32_e32 v44, s24, v45
	v_mul_lo_u32 v22, v44, s28
	v_cmp_lt_i32_e64 s[8:9], v44, v32
	v_ashrrev_i32_e32 v23, 31, v22
	s_and_b64 s[40:41], s[8:9], vcc
	v_lshl_add_u64 v[22:23], v[22:23], 1, v[6:7]
	s_and_b64 s[50:51], s[2:3], s[40:41]
	v_mov_b32_e32 v38, 0
	v_mov_b32_e32 v40, 0
	s_and_saveexec_b64 s[40:41], s[50:51]
	s_cbranch_execz .LBB8_28
; %bb.27:                               ;   in Loop: Header=BB8_9 Depth=2
	v_lshl_add_u64 v[16:17], v[16:17], 1, v[22:23]
	global_load_ushort v40, v[16:17], off
.LBB8_28:                               ;   in Loop: Header=BB8_9 Depth=2
	s_or_b64 exec, exec, s[40:41]
	s_and_b64 s[4:5], s[8:9], s[4:5]
	s_and_b64 s[40:41], s[2:3], s[4:5]
	s_and_saveexec_b64 s[4:5], s[40:41]
	s_cbranch_execz .LBB8_30
; %bb.29:                               ;   in Loop: Header=BB8_9 Depth=2
	v_lshl_add_u64 v[16:17], v[18:19], 1, v[22:23]
	global_load_ushort v38, v[16:17], off
.LBB8_30:                               ;   in Loop: Header=BB8_9 Depth=2
	s_or_b64 exec, exec, s[4:5]
	s_and_b64 s[4:5], s[8:9], s[6:7]
	s_and_b64 s[6:7], s[2:3], s[4:5]
	v_mov_b32_e32 v16, 0
	s_and_saveexec_b64 s[4:5], s[6:7]
	s_cbranch_execz .LBB8_32
; %bb.31:                               ;   in Loop: Header=BB8_9 Depth=2
	v_lshl_add_u64 v[16:17], v[20:21], 1, v[22:23]
	global_load_ushort v16, v[16:17], off
.LBB8_32:                               ;   in Loop: Header=BB8_9 Depth=2
	s_or_b64 exec, exec, s[4:5]
	v_mul_lo_u32 v17, v12, s15
	s_and_saveexec_b64 s[8:9], s[44:45]
	s_cbranch_execz .LBB8_35
; %bb.33:                               ;   in Loop: Header=BB8_9 Depth=2
	ds_read_u16 v18, v5
	s_waitcnt vmcnt(0)
	v_cmp_u_f16_e64 s[4:5], v41, v41
	s_waitcnt lgkmcnt(0)
	v_cmp_lt_f16_e32 vcc, v18, v41
	s_or_b64 s[4:5], vcc, s[4:5]
	s_and_b64 exec, exec, s[4:5]
	s_cbranch_execz .LBB8_35
; %bb.34:                               ;   in Loop: Header=BB8_9 Depth=2
	v_add_u32_e32 v18, v15, v17
	ds_write_b16 v5, v41
	ds_write_b32 v26, v18
.LBB8_35:                               ;   in Loop: Header=BB8_9 Depth=2
	s_or_b64 exec, exec, s[8:9]
	s_and_saveexec_b64 s[8:9], s[46:47]
	s_cbranch_execz .LBB8_38
; %bb.36:                               ;   in Loop: Header=BB8_9 Depth=2
	ds_read_u16 v18, v5
	s_waitcnt vmcnt(0)
	v_cmp_u_f16_e64 s[4:5], v36, v36
	s_waitcnt lgkmcnt(0)
	v_cmp_lt_f16_e32 vcc, v18, v36
	s_or_b64 s[4:5], vcc, s[4:5]
	s_and_b64 exec, exec, s[4:5]
	s_cbranch_execz .LBB8_38
; %bb.37:                               ;   in Loop: Header=BB8_9 Depth=2
	v_add_u32_e32 v18, v35, v17
	ds_write_b16 v5, v36
	ds_write_b32 v26, v18
.LBB8_38:                               ;   in Loop: Header=BB8_9 Depth=2
	s_or_b64 exec, exec, s[8:9]
	s_and_saveexec_b64 s[8:9], s[48:49]
	s_cbranch_execz .LBB8_41
; %bb.39:                               ;   in Loop: Header=BB8_9 Depth=2
	ds_read_u16 v18, v5
	s_waitcnt vmcnt(0)
	v_cmp_u_f16_e64 s[4:5], v43, v43
	s_waitcnt lgkmcnt(0)
	v_cmp_lt_f16_e32 vcc, v18, v43
	s_or_b64 s[4:5], vcc, s[4:5]
	s_and_b64 exec, exec, s[4:5]
	s_cbranch_execz .LBB8_41
; %bb.40:                               ;   in Loop: Header=BB8_9 Depth=2
	v_add_u32_e32 v17, v13, v17
	ds_write_b16 v5, v43
	ds_write_b32 v26, v17
.LBB8_41:                               ;   in Loop: Header=BB8_9 Depth=2
	s_or_b64 exec, exec, s[8:9]
	v_mul_lo_u32 v17, v45, s15
	s_and_saveexec_b64 s[8:9], s[54:55]
	s_cbranch_execz .LBB8_44
; %bb.42:                               ;   in Loop: Header=BB8_9 Depth=2
	ds_read_u16 v18, v5
	s_waitcnt vmcnt(0)
	v_cmp_u_f16_e64 s[4:5], v37, v37
	s_waitcnt lgkmcnt(0)
	v_cmp_lt_f16_e32 vcc, v18, v37
	s_or_b64 s[4:5], vcc, s[4:5]
	s_and_b64 exec, exec, s[4:5]
	s_cbranch_execz .LBB8_44
; %bb.43:                               ;   in Loop: Header=BB8_9 Depth=2
	v_add_u32_e32 v18, v15, v17
	ds_write_b16 v5, v37
	ds_write_b32 v26, v18
.LBB8_44:                               ;   in Loop: Header=BB8_9 Depth=2
	s_or_b64 exec, exec, s[8:9]
	s_and_saveexec_b64 s[8:9], s[52:53]
	s_cbranch_execz .LBB8_47
; %bb.45:                               ;   in Loop: Header=BB8_9 Depth=2
	ds_read_u16 v18, v5
	s_waitcnt vmcnt(0)
	v_cmp_u_f16_e64 s[4:5], v42, v42
	s_waitcnt lgkmcnt(0)
	v_cmp_lt_f16_e32 vcc, v18, v42
	s_or_b64 s[4:5], vcc, s[4:5]
	s_and_b64 exec, exec, s[4:5]
	s_cbranch_execz .LBB8_47
; %bb.46:                               ;   in Loop: Header=BB8_9 Depth=2
	v_add_u32_e32 v18, v35, v17
	ds_write_b16 v5, v42
	ds_write_b32 v26, v18
.LBB8_47:                               ;   in Loop: Header=BB8_9 Depth=2
	s_or_b64 exec, exec, s[8:9]
	s_and_saveexec_b64 s[8:9], s[42:43]
	s_cbranch_execz .LBB8_50
; %bb.48:                               ;   in Loop: Header=BB8_9 Depth=2
	ds_read_u16 v18, v5
	s_waitcnt vmcnt(0)
	v_cmp_u_f16_e64 s[4:5], v39, v39
	s_waitcnt lgkmcnt(0)
	v_cmp_lt_f16_e32 vcc, v18, v39
	s_or_b64 s[4:5], vcc, s[4:5]
	s_and_b64 exec, exec, s[4:5]
	s_cbranch_execz .LBB8_50
; %bb.49:                               ;   in Loop: Header=BB8_9 Depth=2
	v_add_u32_e32 v17, v13, v17
	ds_write_b16 v5, v39
	ds_write_b32 v26, v17
.LBB8_50:                               ;   in Loop: Header=BB8_9 Depth=2
	;; [unrolled: 52-line block ×3, first 2 shown]
	s_or_b64 exec, exec, s[8:9]
	s_branch .LBB8_13
.LBB8_60:                               ;   in Loop: Header=BB8_9 Depth=2
	v_cmp_lt_i32_e32 vcc, v12, v32
	s_and_saveexec_b64 s[8:9], vcc
	s_cbranch_execz .LBB8_71
; %bb.61:                               ;   in Loop: Header=BB8_9 Depth=2
	v_cmp_lt_i32_e32 vcc, v15, v34
	s_mov_b64 s[40:41], 0
	v_mov_b32_e32 v13, v12
	s_branch .LBB8_63
.LBB8_62:                               ;   in Loop: Header=BB8_63 Depth=3
	s_or_b64 exec, exec, s[42:43]
	v_add_u32_e32 v13, s24, v13
	v_cmp_ge_i32_e64 s[4:5], v13, v32
	s_or_b64 s[40:41], s[4:5], s[40:41]
	s_andn2_b64 exec, exec, s[40:41]
	s_cbranch_execz .LBB8_71
.LBB8_63:                               ;   Parent Loop BB8_6 Depth=1
                                        ;     Parent Loop BB8_9 Depth=2
                                        ; =>    This Loop Header: Depth=3
                                        ;         Child Loop BB8_66 Depth 4
                                        ;           Child Loop BB8_69 Depth 5
	s_and_saveexec_b64 s[42:43], vcc
	s_cbranch_execz .LBB8_62
; %bb.64:                               ;   in Loop: Header=BB8_63 Depth=3
	s_waitcnt vmcnt(0)
	v_mul_lo_u32 v16, v13, s28
	v_ashrrev_i32_e32 v17, 31, v16
	v_lshl_add_u64 v[16:17], v[16:17], 1, s[10:11]
	v_mul_lo_u32 v22, v13, s15
	s_mov_b64 s[44:45], 0
	v_mov_b32_e32 v23, v15
	s_branch .LBB8_66
.LBB8_65:                               ;   in Loop: Header=BB8_66 Depth=4
	s_or_b64 exec, exec, s[46:47]
	v_add_u32_e32 v23, s25, v23
	v_cmp_ge_i32_e64 s[4:5], v23, v34
	s_or_b64 s[44:45], s[4:5], s[44:45]
	s_andn2_b64 exec, exec, s[44:45]
	s_cbranch_execz .LBB8_62
.LBB8_66:                               ;   Parent Loop BB8_6 Depth=1
                                        ;     Parent Loop BB8_9 Depth=2
                                        ;       Parent Loop BB8_63 Depth=3
                                        ; =>      This Loop Header: Depth=4
                                        ;           Child Loop BB8_69 Depth 5
	s_and_saveexec_b64 s[46:47], s[2:3]
	s_cbranch_execz .LBB8_65
; %bb.67:                               ;   in Loop: Header=BB8_66 Depth=4
	v_mul_lo_u32 v18, v23, s29
	v_ashrrev_i32_e32 v19, 31, v18
	v_lshl_add_u64 v[18:19], v[18:19], 1, v[16:17]
	v_add_u32_e32 v35, v23, v22
	s_mov_b64 s[48:49], 0
	v_mov_b32_e32 v36, v30
	v_mov_b32_e32 v37, v29
	;; [unrolled: 1-line block ×4, first 2 shown]
	s_branch .LBB8_69
.LBB8_68:                               ;   in Loop: Header=BB8_69 Depth=5
	s_or_b64 exec, exec, s[4:5]
	v_add_u32_e32 v38, s16, v38
	v_cmp_le_i32_e64 s[4:5], s13, v38
	v_add_u32_e32 v20, s60, v20
	v_add_u32_e32 v37, s61, v37
	s_or_b64 s[48:49], s[4:5], s[48:49]
	v_add_u32_e32 v36, s62, v36
	s_andn2_b64 exec, exec, s[48:49]
	s_cbranch_execz .LBB8_65
.LBB8_69:                               ;   Parent Loop BB8_6 Depth=1
                                        ;     Parent Loop BB8_9 Depth=2
                                        ;       Parent Loop BB8_63 Depth=3
                                        ;         Parent Loop BB8_66 Depth=4
                                        ; =>        This Inner Loop Header: Depth=5
	v_ashrrev_i32_e32 v21, 31, v20
	v_lshl_add_u64 v[40:41], v[20:21], 1, v[18:19]
	global_load_ushort v21, v[40:41], off
	ds_read_u16 v39, v37
	s_waitcnt vmcnt(0) lgkmcnt(0)
	v_cmp_lt_f16_e64 s[4:5], v39, v21
	v_cmp_u_f16_e64 s[6:7], v21, v21
	s_or_b64 s[6:7], s[4:5], s[6:7]
	s_and_saveexec_b64 s[4:5], s[6:7]
	s_cbranch_execz .LBB8_68
; %bb.70:                               ;   in Loop: Header=BB8_69 Depth=5
	ds_write_b16 v37, v21
	ds_write_b32 v36, v35
	s_branch .LBB8_68
.LBB8_71:                               ;   in Loop: Header=BB8_9 Depth=2
	s_or_b64 exec, exec, s[8:9]
	s_and_saveexec_b64 s[4:5], s[2:3]
	s_cbranch_execz .LBB8_8
.LBB8_72:                               ;   in Loop: Header=BB8_9 Depth=2
	v_ashrrev_i32_e32 v15, 31, v14
	s_waitcnt vmcnt(0)
	v_lshl_add_u64 v[16:17], v[14:15], 1, v[8:9]
	v_lshl_add_u64 v[18:19], v[14:15], 3, v[10:11]
	s_mov_b64 s[6:7], 0
	v_mov_b32_e32 v13, v30
	v_mov_b32_e32 v15, v29
	;; [unrolled: 1-line block ×3, first 2 shown]
.LBB8_73:                               ;   Parent Loop BB8_6 Depth=1
                                        ;     Parent Loop BB8_9 Depth=2
                                        ; =>    This Inner Loop Header: Depth=3
	ds_read_u16 v21, v15
	ds_read_b32 v22, v13
	v_add_u32_e32 v20, s16, v20
	v_cmp_le_i32_e32 vcc, s13, v20
	ds_write_b16 v15, v1
	ds_write_b32 v13, v28
	v_add_u32_e32 v15, s61, v15
	s_waitcnt lgkmcnt(2)
	v_ashrrev_i32_e32 v23, 31, v22
	v_add_u32_e32 v13, s62, v13
	s_or_b64 s[6:7], vcc, s[6:7]
	global_store_short v[16:17], v21, off
	v_lshl_add_u64 v[16:17], v[16:17], 0, s[26:27]
	global_store_dwordx2 v[18:19], v[22:23], off
	v_lshl_add_u64 v[18:19], v[18:19], 0, s[30:31]
	s_andn2_b64 exec, exec, s[6:7]
	s_cbranch_execnz .LBB8_73
	s_branch .LBB8_8
.LBB8_74:
	s_endpgm
	.section	.rodata,"a",@progbits
	.p2align	6, 0x0
	.amdhsa_kernel _ZN2at6native12_GLOBAL__N_121max_pool_forward_nhwcIN3c104HalfEiEEvPKT_iT0_S8_S8_S8_S8_iiiiiiiiS8_S8_S8_S8_iiPS5_Pl
		.amdhsa_group_segment_fixed_size 0
		.amdhsa_private_segment_fixed_size 0
		.amdhsa_kernarg_size 360
		.amdhsa_user_sgpr_count 2
		.amdhsa_user_sgpr_dispatch_ptr 0
		.amdhsa_user_sgpr_queue_ptr 0
		.amdhsa_user_sgpr_kernarg_segment_ptr 1
		.amdhsa_user_sgpr_dispatch_id 0
		.amdhsa_user_sgpr_kernarg_preload_length 0
		.amdhsa_user_sgpr_kernarg_preload_offset 0
		.amdhsa_user_sgpr_private_segment_size 0
		.amdhsa_uses_dynamic_stack 0
		.amdhsa_enable_private_segment 0
		.amdhsa_system_sgpr_workgroup_id_x 1
		.amdhsa_system_sgpr_workgroup_id_y 1
		.amdhsa_system_sgpr_workgroup_id_z 1
		.amdhsa_system_sgpr_workgroup_info 0
		.amdhsa_system_vgpr_workitem_id 2
		.amdhsa_next_free_vgpr 48
		.amdhsa_next_free_sgpr 65
		.amdhsa_accum_offset 48
		.amdhsa_reserve_vcc 1
		.amdhsa_float_round_mode_32 0
		.amdhsa_float_round_mode_16_64 0
		.amdhsa_float_denorm_mode_32 3
		.amdhsa_float_denorm_mode_16_64 3
		.amdhsa_dx10_clamp 1
		.amdhsa_ieee_mode 1
		.amdhsa_fp16_overflow 0
		.amdhsa_tg_split 0
		.amdhsa_exception_fp_ieee_invalid_op 0
		.amdhsa_exception_fp_denorm_src 0
		.amdhsa_exception_fp_ieee_div_zero 0
		.amdhsa_exception_fp_ieee_overflow 0
		.amdhsa_exception_fp_ieee_underflow 0
		.amdhsa_exception_fp_ieee_inexact 0
		.amdhsa_exception_int_div_zero 0
	.end_amdhsa_kernel
	.section	.text._ZN2at6native12_GLOBAL__N_121max_pool_forward_nhwcIN3c104HalfEiEEvPKT_iT0_S8_S8_S8_S8_iiiiiiiiS8_S8_S8_S8_iiPS5_Pl,"axG",@progbits,_ZN2at6native12_GLOBAL__N_121max_pool_forward_nhwcIN3c104HalfEiEEvPKT_iT0_S8_S8_S8_S8_iiiiiiiiS8_S8_S8_S8_iiPS5_Pl,comdat
.Lfunc_end8:
	.size	_ZN2at6native12_GLOBAL__N_121max_pool_forward_nhwcIN3c104HalfEiEEvPKT_iT0_S8_S8_S8_S8_iiiiiiiiS8_S8_S8_S8_iiPS5_Pl, .Lfunc_end8-_ZN2at6native12_GLOBAL__N_121max_pool_forward_nhwcIN3c104HalfEiEEvPKT_iT0_S8_S8_S8_S8_iiiiiiiiS8_S8_S8_S8_iiPS5_Pl
                                        ; -- End function
	.set _ZN2at6native12_GLOBAL__N_121max_pool_forward_nhwcIN3c104HalfEiEEvPKT_iT0_S8_S8_S8_S8_iiiiiiiiS8_S8_S8_S8_iiPS5_Pl.num_vgpr, 48
	.set _ZN2at6native12_GLOBAL__N_121max_pool_forward_nhwcIN3c104HalfEiEEvPKT_iT0_S8_S8_S8_S8_iiiiiiiiS8_S8_S8_S8_iiPS5_Pl.num_agpr, 0
	.set _ZN2at6native12_GLOBAL__N_121max_pool_forward_nhwcIN3c104HalfEiEEvPKT_iT0_S8_S8_S8_S8_iiiiiiiiS8_S8_S8_S8_iiPS5_Pl.numbered_sgpr, 65
	.set _ZN2at6native12_GLOBAL__N_121max_pool_forward_nhwcIN3c104HalfEiEEvPKT_iT0_S8_S8_S8_S8_iiiiiiiiS8_S8_S8_S8_iiPS5_Pl.num_named_barrier, 0
	.set _ZN2at6native12_GLOBAL__N_121max_pool_forward_nhwcIN3c104HalfEiEEvPKT_iT0_S8_S8_S8_S8_iiiiiiiiS8_S8_S8_S8_iiPS5_Pl.private_seg_size, 0
	.set _ZN2at6native12_GLOBAL__N_121max_pool_forward_nhwcIN3c104HalfEiEEvPKT_iT0_S8_S8_S8_S8_iiiiiiiiS8_S8_S8_S8_iiPS5_Pl.uses_vcc, 1
	.set _ZN2at6native12_GLOBAL__N_121max_pool_forward_nhwcIN3c104HalfEiEEvPKT_iT0_S8_S8_S8_S8_iiiiiiiiS8_S8_S8_S8_iiPS5_Pl.uses_flat_scratch, 0
	.set _ZN2at6native12_GLOBAL__N_121max_pool_forward_nhwcIN3c104HalfEiEEvPKT_iT0_S8_S8_S8_S8_iiiiiiiiS8_S8_S8_S8_iiPS5_Pl.has_dyn_sized_stack, 0
	.set _ZN2at6native12_GLOBAL__N_121max_pool_forward_nhwcIN3c104HalfEiEEvPKT_iT0_S8_S8_S8_S8_iiiiiiiiS8_S8_S8_S8_iiPS5_Pl.has_recursion, 0
	.set _ZN2at6native12_GLOBAL__N_121max_pool_forward_nhwcIN3c104HalfEiEEvPKT_iT0_S8_S8_S8_S8_iiiiiiiiS8_S8_S8_S8_iiPS5_Pl.has_indirect_call, 0
	.section	.AMDGPU.csdata,"",@progbits
; Kernel info:
; codeLenInByte = 2916
; TotalNumSgprs: 71
; NumVgprs: 48
; NumAgprs: 0
; TotalNumVgprs: 48
; ScratchSize: 0
; MemoryBound: 0
; FloatMode: 240
; IeeeMode: 1
; LDSByteSize: 0 bytes/workgroup (compile time only)
; SGPRBlocks: 8
; VGPRBlocks: 5
; NumSGPRsForWavesPerEU: 71
; NumVGPRsForWavesPerEU: 48
; AccumOffset: 48
; Occupancy: 8
; WaveLimiterHint : 1
; COMPUTE_PGM_RSRC2:SCRATCH_EN: 0
; COMPUTE_PGM_RSRC2:USER_SGPR: 2
; COMPUTE_PGM_RSRC2:TRAP_HANDLER: 0
; COMPUTE_PGM_RSRC2:TGID_X_EN: 1
; COMPUTE_PGM_RSRC2:TGID_Y_EN: 1
; COMPUTE_PGM_RSRC2:TGID_Z_EN: 1
; COMPUTE_PGM_RSRC2:TIDIG_COMP_CNT: 2
; COMPUTE_PGM_RSRC3_GFX90A:ACCUM_OFFSET: 11
; COMPUTE_PGM_RSRC3_GFX90A:TG_SPLIT: 0
	.section	.text._ZN2at6native12_GLOBAL__N_121max_pool_forward_nhwcIN3c104HalfElEEvPKT_iT0_S8_S8_S8_S8_iiiiiiiiS8_S8_S8_S8_iiPS5_Pl,"axG",@progbits,_ZN2at6native12_GLOBAL__N_121max_pool_forward_nhwcIN3c104HalfElEEvPKT_iT0_S8_S8_S8_S8_iiiiiiiiS8_S8_S8_S8_iiPS5_Pl,comdat
	.globl	_ZN2at6native12_GLOBAL__N_121max_pool_forward_nhwcIN3c104HalfElEEvPKT_iT0_S8_S8_S8_S8_iiiiiiiiS8_S8_S8_S8_iiPS5_Pl ; -- Begin function _ZN2at6native12_GLOBAL__N_121max_pool_forward_nhwcIN3c104HalfElEEvPKT_iT0_S8_S8_S8_S8_iiiiiiiiS8_S8_S8_S8_iiPS5_Pl
	.p2align	8
	.type	_ZN2at6native12_GLOBAL__N_121max_pool_forward_nhwcIN3c104HalfElEEvPKT_iT0_S8_S8_S8_S8_iiiiiiiiS8_S8_S8_S8_iiPS5_Pl,@function
_ZN2at6native12_GLOBAL__N_121max_pool_forward_nhwcIN3c104HalfElEEvPKT_iT0_S8_S8_S8_S8_iiiiiiiiS8_S8_S8_S8_iiPS5_Pl: ; @_ZN2at6native12_GLOBAL__N_121max_pool_forward_nhwcIN3c104HalfElEEvPKT_iT0_S8_S8_S8_S8_iiiiiiiiS8_S8_S8_S8_iiPS5_Pl
; %bb.0:
	s_load_dwordx4 s[8:11], s[0:1], 0x94
	s_load_dwordx2 s[6:7], s[0:1], 0x78
	v_bfe_u32 v2, v0, 10, 10
	v_bfe_u32 v3, v0, 20, 10
	v_and_b32_e32 v8, 0x3ff, v0
	s_waitcnt lgkmcnt(0)
	s_and_b32 s14, s10, 0xffff
	s_lshr_b32 s72, s10, 16
	s_mul_i32 s5, s7, s14
	s_and_b32 s33, s11, 0xffff
	s_mul_i32 s15, s5, s72
	v_mad_u32_u24 v9, v3, s72, v2
	s_mul_i32 s15, s15, s33
	v_mad_u64_u32 v[0:1], s[10:11], v9, s14, v[8:9]
	v_cmp_gt_u32_e32 vcc, s15, v0
	s_and_saveexec_b64 s[10:11], vcc
	s_cbranch_execz .LBB9_3
; %bb.1:
	s_mul_i32 s16, s72, s14
	s_lshl_b32 s12, s15, 3
	s_mul_i32 s16, s16, s33
	s_add_i32 s12, s12, 0
	v_mov_b32_e32 v6, 0
	v_lshl_add_u32 v1, v0, 1, s12
	s_lshl_b32 s17, s16, 1
	v_lshl_add_u32 v4, v0, 3, 0
	s_lshl_b32 s18, s16, 3
	s_mov_b64 s[12:13], 0
	v_mov_b32_e32 v5, 0xfffffc00
	v_mov_b32_e32 v7, v6
.LBB9_2:                                ; =>This Inner Loop Header: Depth=1
	v_add_u32_e32 v0, s16, v0
	v_cmp_le_u32_e32 vcc, s15, v0
	ds_write_b16 v1, v5
	ds_write_b64 v4, v[6:7]
	v_add_u32_e32 v1, s17, v1
	s_or_b64 s[12:13], vcc, s[12:13]
	v_add_u32_e32 v4, s18, v4
	s_andn2_b64 exec, exec, s[12:13]
	s_cbranch_execnz .LBB9_2
.LBB9_3:
	s_or_b64 exec, exec, s[10:11]
	v_cvt_f32_u32_e32 v0, s9
	s_load_dword s10, s[0:1], 0x8
	s_load_dwordx8 s[20:27], s[0:1], 0x10
	s_sub_i32 s11, 0, s9
	s_waitcnt lgkmcnt(0)
	v_rcp_iflag_f32_e32 v0, v0
	v_cvt_f32_u32_e32 v1, s10
	s_add_i32 s12, s26, s9
	s_add_i32 s12, s12, -1
	v_mul_f32_e32 v0, 0x4f7ffffe, v0
	v_cvt_u32_f32_e32 v0, v0
	v_rcp_iflag_f32_e32 v1, v1
	s_barrier
	v_readfirstlane_b32 s13, v0
	s_mul_i32 s16, s11, s13
	s_mul_hi_u32 s16, s13, s16
	v_cvt_f32_u32_e32 v0, s8
	s_add_i32 s13, s13, s16
	s_mul_hi_u32 s13, s12, s13
	s_mul_i32 s16, s13, s9
	s_sub_i32 s12, s12, s16
	v_rcp_iflag_f32_e32 v0, v0
	s_add_i32 s16, s13, 1
	s_sub_i32 s17, s12, s9
	s_cmp_ge_u32 s12, s9
	s_cselect_b32 s13, s16, s13
	s_cselect_b32 s12, s17, s12
	v_mul_f32_e32 v0, 0x4f7ffffe, v0
	s_add_i32 s16, s13, 1
	v_cvt_u32_f32_e32 v0, v0
	s_cmp_ge_u32 s12, s9
	v_mul_f32_e32 v1, 0x4f7ffffe, v1
	s_cselect_b32 s12, s16, s13
	v_cvt_u32_f32_e32 v1, v1
	s_mul_i32 s4, s12, s4
	v_add_u32_e32 v40, s4, v3
	v_readfirstlane_b32 s9, v0
	v_add_u32_e32 v0, s12, v40
	v_min_i32_e32 v41, s26, v0
	v_readfirstlane_b32 s11, v1
	v_cmp_lt_i32_e32 vcc, v40, v41
	s_and_saveexec_b64 s[12:13], vcc
	s_cbranch_execz .LBB9_78
; %bb.4:
	s_load_dwordx2 s[18:19], s[0:1], 0x30
	s_load_dwordx2 s[12:13], s[0:1], 0x0
	s_sub_i32 s4, 0, s10
	s_mul_i32 s4, s4, s11
	s_mul_hi_u32 s4, s11, s4
	s_add_i32 s11, s11, s4
	s_mul_hi_u32 s4, s2, s11
	s_waitcnt lgkmcnt(0)
	s_add_i32 s11, s18, s8
	s_add_i32 s16, s11, -1
	s_sub_i32 s11, 0, s8
	s_mul_i32 s11, s11, s9
	s_mul_hi_u32 s11, s9, s11
	s_add_i32 s9, s9, s11
	s_lshl_b32 s11, s15, 3
	s_add_i32 s15, s11, 0
	s_mul_i32 s11, s4, s10
	s_sub_i32 s11, s2, s11
	s_add_i32 s17, s4, 1
	s_sub_i32 s28, s11, s10
	s_cmp_ge_u32 s11, s10
	s_cselect_b32 s4, s17, s4
	s_cselect_b32 s11, s28, s11
	s_add_i32 s17, s4, 1
	s_load_dwordx8 s[36:43], s[0:1], 0x58
	s_cmp_ge_u32 s11, s10
	s_cselect_b32 s4, s17, s4
	s_mul_i32 s10, s4, s10
	s_sub_i32 s17, s2, s10
	s_ashr_i32 s58, s17, 31
	s_waitcnt lgkmcnt(0)
	s_mul_i32 s2, s36, s58
	s_mul_hi_u32 s10, s36, s17
	s_add_i32 s2, s10, s2
	s_mul_i32 s10, s37, s17
	s_add_i32 s11, s2, s10
	s_mul_i32 s10, s36, s17
	s_mul_hi_u32 s9, s16, s9
	s_lshl_b64 s[10:11], s[10:11], 1
	s_add_u32 s28, s12, s10
	s_mul_i32 s2, s9, s8
	s_addc_u32 s29, s13, s11
	s_sub_i32 s2, s16, s2
	v_mul_lo_u32 v0, s5, v9
	s_add_i32 s5, s9, 1
	s_sub_i32 s10, s2, s8
	s_cmp_ge_u32 s2, s8
	s_cselect_b32 s5, s5, s9
	s_load_dwordx8 s[44:51], s[0:1], 0x38
	s_cselect_b32 s2, s10, s2
	s_add_i32 s9, s5, 1
	s_cmp_ge_u32 s2, s8
	s_cselect_b32 s2, s9, s5
	s_load_dwordx4 s[8:11], s[0:1], 0x80
	s_mul_i32 s0, s2, s3
	v_add_u32_e32 v42, s0, v2
	v_lshlrev_b32_e32 v14, 1, v0
	v_lshlrev_b32_e32 v15, 3, v0
	v_add_u32_e32 v0, s2, v42
	s_waitcnt lgkmcnt(0)
	s_add_i32 s0, s44, -1
	s_add_i32 s2, s45, -1
	s_mul_i32 s0, s50, s0
	s_mul_i32 s2, s51, s2
	s_add_i32 s30, s0, 1
	s_add_i32 s34, s2, 1
	s_ashr_i32 s73, s48, 31
	s_ashr_i32 s31, s30, 31
	;; [unrolled: 1-line block ×6, first 2 shown]
	s_max_i32 s2, s44, s45
	s_mul_i32 s44, s6, s14
	s_cmp_lt_i32 s2, 4
	v_mov_b32_e32 v2, s44
	v_mov_b32_e32 v3, 0
	s_mov_b32 s36, s50
	s_cselect_b64 s[2:3], -1, 0
	v_cmp_le_i64_e32 vcc, s[20:21], v[2:3]
	v_mov_b32_e32 v10, s8
	v_mov_b32_e32 v11, s9
	;; [unrolled: 1-line block ×3, first 2 shown]
	s_and_b64 s[54:55], s[2:3], vcc
	s_ashr_i32 s10, s6, 31
	v_cmp_gt_u64_e64 s[8:9], s[36:37], 1
	s_and_b64 s[8:9], s[8:9], exec
	s_mul_i32 s4, s4, s14
	s_cselect_b32 s77, s37, 0
	s_cselect_b32 s78, s50, 1
	s_add_u32 s8, s49, s51
	v_min_i32_e32 v43, s18, v0
	v_add_u32_e32 v0, s4, v8
	s_addc_u32 s9, s75, s53
	v_ashrrev_i32_e32 v1, 31, v0
	s_sub_u32 s56, 0, s8
	v_mul_lo_u32 v2, s38, v1
	v_mul_lo_u32 v6, s39, v0
	v_mad_u64_u32 v[4:5], s[4:5], s38, v0, 0
	s_subb_u32 s57, 0, s9
	s_mul_hi_u32 s8, s38, s6
	s_mul_i32 s9, s38, s10
	v_add3_u32 v5, v5, v2, v6
	s_mul_hi_i32 s45, s14, s6
	v_lshlrev_b32_e32 v2, 1, v8
	s_add_i32 s8, s8, s9
	s_mul_i32 s9, s39, s6
	s_mul_i32 s6, s38, s6
	v_add3_u32 v44, s15, v14, v2
	s_add_i32 s8, s8, s9
	s_mul_hi_u32 s9, s6, s14
	s_mul_i32 s38, s6, s14
	s_mul_i32 s6, s72, s33
	v_lshlrev_b32_e32 v14, 1, v9
	v_lshl_add_u32 v14, s6, 3, v14
	v_mul_lo_u32 v14, s7, v14
	v_mul_lo_u32 v14, v14, s14
	s_mul_i32 s8, s8, s14
	v_add3_u32 v46, v14, v2, 0
	v_mul_lo_u32 v2, s7, v9
	s_mul_i32 s6, s18, s27
	s_mul_hi_u32 s7, s18, s26
	s_add_i32 s39, s9, s8
	s_add_i32 s6, s7, s6
	s_mul_i32 s7, s19, s26
	s_mul_i32 s8, s18, s26
	s_add_i32 s6, s6, s7
	s_mul_i32 s7, s8, s58
	s_mul_hi_u32 s9, s8, s17
	v_mul_lo_u32 v2, v2, s14
	s_add_i32 s7, s9, s7
	s_mul_i32 s6, s6, s17
	v_mov_b32_e32 v13, s11
	v_lshlrev_b32_e32 v8, 3, v8
	v_lshlrev_b32_e32 v2, 3, v2
	s_add_i32 s7, s7, s6
	s_mul_i32 s6, s8, s17
	s_mov_b32 s74, s48
	v_cmp_lt_i32_e64 s[0:1], v42, v43
	s_mov_b32 s76, s49
	s_mov_b32 s52, s51
	v_cmp_le_i64_e64 s[2:3], s[20:21], v[0:1]
	v_lshl_add_u64 v[6:7], v[4:5], 1, s[28:29]
	v_cmp_gt_i64_e64 s[4:5], s[20:21], v[0:1]
	v_add3_u32 v45, 0, v15, v8
	s_mov_b64 s[48:49], 0
	s_lshl_b32 s79, s14, 1
	v_add3_u32 v47, v2, v8, 0
	s_lshl_b32 s80, s14, 3
	v_lshl_add_u64 v[8:9], v[0:1], 3, v[12:13]
	s_lshl_b64 s[26:27], s[6:7], 3
	s_lshl_b64 s[58:59], s[44:45], 3
	v_lshl_add_u64 v[10:11], v[0:1], 1, v[10:11]
	s_lshl_b64 s[60:61], s[6:7], 1
	s_lshl_b64 s[62:63], s[44:45], 1
	v_mov_b32_e32 v48, 0xfffffc00
	v_mov_b32_e32 v60, v3
	;; [unrolled: 1-line block ×3, first 2 shown]
	s_branch .LBB9_6
.LBB9_5:                                ;   in Loop: Header=BB9_6 Depth=1
	s_or_b64 exec, exec, s[64:65]
	v_add_u32_e32 v40, s33, v40
	v_cmp_ge_i32_e32 vcc, v40, v41
	s_or_b64 s[48:49], vcc, s[48:49]
	s_andn2_b64 exec, exec, s[48:49]
	s_cbranch_execz .LBB9_78
.LBB9_6:                                ; =>This Loop Header: Depth=1
                                        ;     Child Loop BB9_9 Depth 2
                                        ;       Child Loop BB9_14 Depth 3
                                        ;       Child Loop BB9_67 Depth 3
                                        ;         Child Loop BB9_70 Depth 4
                                        ;           Child Loop BB9_73 Depth 5
                                        ;       Child Loop BB9_77 Depth 3
	s_and_saveexec_b64 s[64:65], s[0:1]
	s_cbranch_execz .LBB9_5
; %bb.7:                                ;   in Loop: Header=BB9_6 Depth=1
	v_ashrrev_i32_e32 v2, 31, v40
	v_mul_lo_u32 v14, s19, v40
	v_mul_lo_u32 v2, s18, v2
	v_mad_u64_u32 v[12:13], s[6:7], s18, v40, 0
	v_add3_u32 v13, v13, v2, v14
	v_mad_i64_i32 v[14:15], s[6:7], v40, s46, 0
	v_mov_b32_e32 v2, s73
	v_subrev_co_u32_e32 v14, vcc, s74, v14
	s_mov_b64 s[66:67], 0
	s_nop 0
	v_subb_co_u32_e32 v15, vcc, v15, v2, vcc
	v_lshl_add_u64 v[16:17], v[14:15], 0, s[30:31]
	v_mov_b32_e32 v2, s23
	v_cmp_gt_i64_e32 vcc, s[22:23], v[16:17]
	v_mov_b32_e32 v18, v42
	s_nop 0
	v_cndmask_b32_e32 v17, v2, v17, vcc
	v_mov_b32_e32 v2, s22
	v_cndmask_b32_e32 v16, v2, v16, vcc
	s_branch .LBB9_9
.LBB9_8:                                ;   in Loop: Header=BB9_9 Depth=2
	s_or_b64 exec, exec, s[6:7]
	v_add_u32_e32 v18, s72, v18
	v_cmp_ge_i32_e32 vcc, v18, v43
	s_or_b64 s[66:67], vcc, s[66:67]
	s_andn2_b64 exec, exec, s[66:67]
	s_cbranch_execz .LBB9_5
.LBB9_9:                                ;   Parent Loop BB9_6 Depth=1
                                        ; =>  This Loop Header: Depth=2
                                        ;       Child Loop BB9_14 Depth 3
                                        ;       Child Loop BB9_67 Depth 3
                                        ;         Child Loop BB9_70 Depth 4
                                        ;           Child Loop BB9_73 Depth 5
                                        ;       Child Loop BB9_77 Depth 3
	v_cmp_lt_i64_e32 vcc, 0, v[14:15]
	v_lshrrev_b32_e32 v2, 31, v15
	v_lshl_add_u64 v[20:21], v[14:15], 0, v[2:3]
	v_cndmask_b32_e32 v19, 0, v14, vcc
	v_cndmask_b32_e32 v22, 0, v15, vcc
	v_sub_co_u32_e32 v19, vcc, v19, v20
	s_nop 1
	v_subb_co_u32_e32 v20, vcc, v22, v21, vcc
	v_or_b32_e32 v23, s77, v20
	v_mov_b32_e32 v22, v3
	v_cmp_ne_u64_e32 vcc, 0, v[22:23]
                                        ; implicit-def: $vgpr22_vgpr23
	s_and_saveexec_b64 s[6:7], vcc
	s_xor_b64 s[8:9], exec, s[6:7]
	s_cbranch_execz .LBB9_11
; %bb.10:                               ;   in Loop: Header=BB9_9 Depth=2
	v_cvt_f32_u32_e32 v21, s78
	v_cvt_f32_u32_e32 v22, s77
	s_sub_u32 s10, 0, s78
	s_subb_u32 s11, 0, s77
	v_mov_b32_e32 v25, v3
	v_fmac_f32_e32 v21, 0x4f800000, v22
	v_rcp_f32_e32 v21, v21
	s_nop 0
	v_mul_f32_e32 v21, 0x5f7ffffc, v21
	v_mul_f32_e32 v22, 0x2f800000, v21
	v_trunc_f32_e32 v22, v22
	v_fmac_f32_e32 v21, 0xcf800000, v22
	v_cvt_u32_f32_e32 v22, v22
	v_cvt_u32_f32_e32 v21, v21
	v_readfirstlane_b32 s12, v22
	v_readfirstlane_b32 s6, v21
	s_mul_i32 s7, s10, s12
	s_mul_hi_u32 s14, s10, s6
	s_mul_i32 s13, s11, s6
	s_add_i32 s7, s14, s7
	s_mul_i32 s15, s10, s6
	s_add_i32 s7, s7, s13
	s_mul_i32 s14, s6, s7
	s_mul_hi_u32 s16, s6, s15
	s_mul_hi_u32 s13, s6, s7
	s_add_u32 s14, s16, s14
	s_addc_u32 s13, 0, s13
	s_mul_hi_u32 s17, s12, s15
	s_mul_i32 s15, s12, s15
	s_add_u32 s14, s14, s15
	s_mul_hi_u32 s16, s12, s7
	s_addc_u32 s13, s13, s17
	s_addc_u32 s14, s16, 0
	s_mul_i32 s7, s12, s7
	s_add_u32 s7, s13, s7
	s_addc_u32 s13, 0, s14
	s_add_u32 s14, s6, s7
	s_cselect_b64 s[6:7], -1, 0
	s_cmp_lg_u64 s[6:7], 0
	s_addc_u32 s12, s12, s13
	s_mul_i32 s6, s10, s12
	s_mul_hi_u32 s7, s10, s14
	s_add_i32 s6, s7, s6
	s_mul_i32 s11, s11, s14
	s_add_i32 s6, s6, s11
	s_mul_i32 s10, s10, s14
	s_mul_hi_u32 s11, s12, s10
	s_mul_i32 s13, s12, s10
	s_mul_i32 s16, s14, s6
	s_mul_hi_u32 s10, s14, s10
	s_mul_hi_u32 s15, s14, s6
	s_add_u32 s10, s10, s16
	s_addc_u32 s15, 0, s15
	s_add_u32 s10, s10, s13
	s_mul_hi_u32 s7, s12, s6
	s_addc_u32 s10, s15, s11
	s_addc_u32 s7, s7, 0
	s_mul_i32 s6, s12, s6
	s_add_u32 s6, s10, s6
	s_addc_u32 s10, 0, s7
	s_add_u32 s11, s14, s6
	s_cselect_b64 s[6:7], -1, 0
	s_cmp_lg_u64 s[6:7], 0
	s_addc_u32 s10, s12, s10
	v_mad_u64_u32 v[22:23], s[6:7], v19, s10, 0
	v_mul_hi_u32 v24, v19, s11
	v_lshl_add_u64 v[22:23], v[24:25], 0, v[22:23]
	v_mad_u64_u32 v[26:27], s[6:7], v20, s11, 0
	v_add_co_u32_e32 v21, vcc, v22, v26
	v_mad_u64_u32 v[24:25], s[6:7], v20, s10, 0
	s_nop 0
	v_addc_co_u32_e32 v22, vcc, v23, v27, vcc
	v_mov_b32_e32 v23, v3
	s_nop 0
	v_addc_co_u32_e32 v25, vcc, 0, v25, vcc
	v_lshl_add_u64 v[22:23], v[22:23], 0, v[24:25]
	v_mul_lo_u32 v21, s77, v22
	v_mul_lo_u32 v26, s78, v23
	v_mad_u64_u32 v[24:25], s[6:7], s78, v22, 0
	v_add3_u32 v21, v25, v26, v21
	v_sub_u32_e32 v25, v20, v21
	v_mov_b32_e32 v26, s77
	v_sub_co_u32_e32 v19, vcc, v19, v24
	s_nop 1
	v_subb_co_u32_e64 v24, s[6:7], v25, v26, vcc
	v_subrev_co_u32_e64 v25, s[6:7], s78, v19
	v_subb_co_u32_e32 v20, vcc, v20, v21, vcc
	s_nop 0
	v_subbrev_co_u32_e64 v24, s[6:7], 0, v24, s[6:7]
	v_cmp_le_u32_e64 s[6:7], s77, v24
	v_cmp_le_u32_e32 vcc, s77, v20
	s_nop 0
	v_cndmask_b32_e64 v26, 0, -1, s[6:7]
	v_cmp_le_u32_e64 s[6:7], s78, v25
	v_cndmask_b32_e64 v21, 0, -1, vcc
	v_cmp_le_u32_e32 vcc, s78, v19
	v_cndmask_b32_e64 v25, 0, -1, s[6:7]
	v_cmp_eq_u32_e64 s[6:7], s77, v24
	v_cndmask_b32_e64 v19, 0, -1, vcc
	v_cmp_eq_u32_e32 vcc, s77, v20
	v_cndmask_b32_e64 v28, v26, v25, s[6:7]
	v_lshl_add_u64 v[24:25], v[22:23], 0, 2
	v_lshl_add_u64 v[26:27], v[22:23], 0, 1
	v_cmp_ne_u32_e64 s[6:7], 0, v28
	v_cndmask_b32_e32 v19, v21, v19, vcc
	v_cmp_ne_u32_e32 vcc, 0, v19
	v_cndmask_b32_e64 v25, v27, v25, s[6:7]
	v_cndmask_b32_e64 v19, v26, v24, s[6:7]
	v_cndmask_b32_e32 v23, v23, v25, vcc
	v_cndmask_b32_e32 v22, v22, v19, vcc
                                        ; implicit-def: $vgpr19
.LBB9_11:                               ;   in Loop: Header=BB9_9 Depth=2
	s_andn2_saveexec_b64 s[6:7], s[8:9]
	s_cbranch_execz .LBB9_13
; %bb.12:                               ;   in Loop: Header=BB9_9 Depth=2
	v_cvt_f32_u32_e32 v20, s78
	s_sub_i32 s8, 0, s78
	v_mov_b32_e32 v23, v3
	v_rcp_iflag_f32_e32 v20, v20
	s_nop 0
	v_mul_f32_e32 v20, 0x4f7ffffe, v20
	v_cvt_u32_f32_e32 v20, v20
	v_mul_lo_u32 v21, s8, v20
	v_mul_hi_u32 v21, v20, v21
	v_add_u32_e32 v20, v20, v21
	v_mul_hi_u32 v20, v19, v20
	v_mul_lo_u32 v21, v20, s78
	v_sub_u32_e32 v19, v19, v21
	v_add_u32_e32 v22, 1, v20
	v_subrev_u32_e32 v21, s78, v19
	v_cmp_le_u32_e32 vcc, s78, v19
	s_nop 1
	v_cndmask_b32_e32 v19, v19, v21, vcc
	v_cndmask_b32_e32 v20, v20, v22, vcc
	v_add_u32_e32 v21, 1, v20
	v_cmp_le_u32_e32 vcc, s78, v19
	s_nop 1
	v_cndmask_b32_e32 v22, v20, v21, vcc
.LBB9_13:                               ;   in Loop: Header=BB9_9 Depth=2
	s_or_b64 exec, exec, s[6:7]
	v_mov_b64_e32 v[20:21], s[56:57]
	v_mad_i64_i32 v[24:25], s[6:7], s47, v18, 0
	v_mad_i64_i32 v[20:21], s[6:7], s47, v18, v[20:21]
	v_ashrrev_i32_e32 v19, 31, v18
	s_mov_b64 s[6:7], 0
.LBB9_14:                               ;   Parent Loop BB9_6 Depth=1
                                        ;     Parent Loop BB9_9 Depth=2
                                        ; =>    This Inner Loop Header: Depth=3
	v_lshl_add_u64 v[20:21], v[20:21], 0, s[52:53]
	v_cmp_lt_i64_e32 vcc, -1, v[20:21]
	s_or_b64 s[6:7], vcc, s[6:7]
	s_andn2_b64 exec, exec, s[6:7]
	s_cbranch_execnz .LBB9_14
; %bb.15:                               ;   in Loop: Header=BB9_9 Depth=2
	s_or_b64 exec, exec, s[6:7]
	v_mov_b32_e32 v26, s75
	v_subrev_co_u32_e32 v24, vcc, s76, v24
	s_nop 1
	v_subb_co_u32_e32 v25, vcc, v25, v26, vcc
	v_lshl_add_u64 v[24:25], v[24:25], 0, s[34:35]
	v_lshl_add_u64 v[26:27], v[2:3], 0, v[22:23]
	v_mov_b32_e32 v2, s25
	v_cmp_gt_i64_e32 vcc, s[24:25], v[24:25]
	v_mad_u64_u32 v[14:15], s[6:7], v26, s36, v[14:15]
	s_nop 0
	v_cndmask_b32_e32 v23, v2, v25, vcc
	v_mov_b32_e32 v2, s24
	v_cndmask_b32_e32 v22, v2, v24, vcc
	v_mul_lo_u32 v2, v26, s37
	v_mul_lo_u32 v24, v27, s36
	v_add3_u32 v15, v24, v15, v2
	s_mov_b64 s[6:7], -1
	s_and_b64 vcc, exec, s[54:55]
	s_cbranch_vccnz .LBB9_18
; %bb.16:                               ;   in Loop: Header=BB9_9 Depth=2
	s_and_b64 vcc, exec, s[6:7]
	s_cbranch_vccnz .LBB9_64
.LBB9_17:                               ;   in Loop: Header=BB9_9 Depth=2
	s_and_saveexec_b64 s[6:7], s[4:5]
	s_cbranch_execz .LBB9_8
	s_branch .LBB9_76
.LBB9_18:                               ;   in Loop: Header=BB9_9 Depth=2
	v_ashrrev_i32_e32 v31, 31, v14
	v_mul_lo_u32 v2, s41, v14
	v_mul_lo_u32 v26, s40, v31
	v_mad_u64_u32 v[24:25], s[6:7], s40, v14, 0
	v_add3_u32 v25, v25, v26, v2
	v_mov_b32_e32 v30, v14
	v_lshl_add_u64 v[32:33], v[24:25], 1, v[6:7]
	v_ashrrev_i32_e32 v25, 31, v20
	v_mov_b32_e32 v24, v20
	v_cmp_le_i64_e32 vcc, v[16:17], v[30:31]
	v_cmp_le_i64_e64 s[10:11], v[22:23], v[24:25]
	s_or_b64 s[6:7], vcc, s[10:11]
	s_nor_b64 s[8:9], s[6:7], s[2:3]
	v_mov_b32_e32 v2, 0
	v_mul_lo_u32 v51, s43, v24
	v_mul_lo_u32 v55, s42, v25
	v_mov_b32_e32 v50, 0
	s_and_saveexec_b64 s[6:7], s[8:9]
	s_cbranch_execz .LBB9_20
; %bb.19:                               ;   in Loop: Header=BB9_9 Depth=2
	v_mad_u64_u32 v[26:27], s[8:9], s42, v24, 0
	v_add3_u32 v27, v27, v55, v51
	v_lshl_add_u64 v[26:27], v[26:27], 1, v[32:33]
	global_load_ushort v50, v[26:27], off
.LBB9_20:                               ;   in Loop: Header=BB9_9 Depth=2
	s_or_b64 exec, exec, s[6:7]
	v_add_u32_e32 v26, s51, v20
	v_ashrrev_i32_e32 v27, 31, v26
	v_cmp_le_i64_e64 s[12:13], v[22:23], v[26:27]
	s_or_b64 s[6:7], vcc, s[12:13]
	s_nor_b64 s[8:9], s[6:7], s[2:3]
	v_mul_lo_u32 v56, s43, v26
	v_mul_lo_u32 v57, s42, v27
	s_and_saveexec_b64 s[6:7], s[8:9]
	s_cbranch_execz .LBB9_22
; %bb.21:                               ;   in Loop: Header=BB9_9 Depth=2
	v_mad_u64_u32 v[28:29], s[8:9], s42, v26, 0
	v_add3_u32 v29, v29, v57, v56
	v_lshl_add_u64 v[28:29], v[28:29], 1, v[32:33]
	global_load_ushort v2, v[28:29], off
.LBB9_22:                               ;   in Loop: Header=BB9_9 Depth=2
	s_or_b64 exec, exec, s[6:7]
	v_add_u32_e32 v28, s51, v26
	v_ashrrev_i32_e32 v29, 31, v28
	v_cmp_le_i64_e64 s[14:15], v[22:23], v[28:29]
	s_or_b64 s[6:7], vcc, s[14:15]
	s_nor_b64 s[8:9], s[6:7], s[2:3]
	v_mov_b32_e32 v38, 0
	v_mul_lo_u32 v58, s43, v28
	v_mul_lo_u32 v59, s42, v29
	v_mov_b32_e32 v52, 0
	s_and_saveexec_b64 s[6:7], s[8:9]
	s_cbranch_execz .LBB9_24
; %bb.23:                               ;   in Loop: Header=BB9_9 Depth=2
	v_mad_u64_u32 v[34:35], s[8:9], s42, v28, 0
	v_add3_u32 v35, v35, v59, v58
	v_lshl_add_u64 v[32:33], v[34:35], 1, v[32:33]
	global_load_ushort v52, v[32:33], off
.LBB9_24:                               ;   in Loop: Header=BB9_9 Depth=2
	s_or_b64 exec, exec, s[6:7]
	v_add_u32_e32 v34, s50, v14
	v_ashrrev_i32_e32 v35, 31, v34
	v_mul_lo_u32 v36, s40, v35
	v_mul_lo_u32 v37, s41, v34
	v_mad_u64_u32 v[32:33], s[6:7], s40, v34, 0
	v_cmp_le_i64_e64 s[8:9], v[16:17], v[34:35]
	v_add3_u32 v33, v33, v36, v37
	s_or_b64 s[6:7], s[8:9], s[10:11]
	v_lshl_add_u64 v[32:33], v[32:33], 1, v[6:7]
	s_nor_b64 s[16:17], s[6:7], s[2:3]
	s_and_saveexec_b64 s[6:7], s[16:17]
	s_cbranch_execz .LBB9_26
; %bb.25:                               ;   in Loop: Header=BB9_9 Depth=2
	v_mad_u64_u32 v[36:37], s[16:17], s42, v24, 0
	v_add3_u32 v37, v37, v55, v51
	v_lshl_add_u64 v[36:37], v[36:37], 1, v[32:33]
	global_load_ushort v38, v[36:37], off
.LBB9_26:                               ;   in Loop: Header=BB9_9 Depth=2
	s_or_b64 exec, exec, s[6:7]
	s_or_b64 s[6:7], s[8:9], s[12:13]
	s_nor_b64 s[16:17], s[6:7], s[2:3]
	v_mov_b32_e32 v39, 0
	v_mov_b32_e32 v53, 0
	s_and_saveexec_b64 s[6:7], s[16:17]
	s_cbranch_execz .LBB9_28
; %bb.27:                               ;   in Loop: Header=BB9_9 Depth=2
	v_mad_u64_u32 v[36:37], s[16:17], s42, v26, 0
	v_add3_u32 v37, v37, v57, v56
	v_lshl_add_u64 v[36:37], v[36:37], 1, v[32:33]
	global_load_ushort v53, v[36:37], off
.LBB9_28:                               ;   in Loop: Header=BB9_9 Depth=2
	s_or_b64 exec, exec, s[6:7]
	s_or_b64 s[6:7], s[8:9], s[14:15]
	s_nor_b64 s[16:17], s[6:7], s[2:3]
	s_and_saveexec_b64 s[6:7], s[16:17]
	s_cbranch_execz .LBB9_30
; %bb.29:                               ;   in Loop: Header=BB9_9 Depth=2
	v_mad_u64_u32 v[36:37], s[16:17], s42, v28, 0
	v_add3_u32 v37, v37, v59, v58
	v_lshl_add_u64 v[32:33], v[36:37], 1, v[32:33]
	global_load_ushort v39, v[32:33], off
.LBB9_30:                               ;   in Loop: Header=BB9_9 Depth=2
	s_or_b64 exec, exec, s[6:7]
	v_add_u32_e32 v32, s50, v34
	v_ashrrev_i32_e32 v33, 31, v32
	v_mad_u64_u32 v[36:37], s[6:7], s40, v32, 0
	v_mul_lo_u32 v49, s40, v33
	v_mul_lo_u32 v54, s41, v32
	v_cmp_le_i64_e64 s[6:7], v[16:17], v[32:33]
	v_add3_u32 v37, v37, v49, v54
	s_or_b64 s[16:17], s[6:7], s[10:11]
	v_lshl_add_u64 v[36:37], v[36:37], 1, v[6:7]
	s_nor_b64 s[68:69], s[16:17], s[2:3]
	v_mov_b32_e32 v49, 0
	v_mov_b32_e32 v54, 0
	s_and_saveexec_b64 s[16:17], s[68:69]
	s_cbranch_execz .LBB9_32
; %bb.31:                               ;   in Loop: Header=BB9_9 Depth=2
	v_mad_u64_u32 v[62:63], s[68:69], s42, v24, 0
	v_add3_u32 v63, v63, v55, v51
	v_lshl_add_u64 v[54:55], v[62:63], 1, v[36:37]
	global_load_ushort v54, v[54:55], off
.LBB9_32:                               ;   in Loop: Header=BB9_9 Depth=2
	s_or_b64 exec, exec, s[16:17]
	s_or_b64 s[16:17], s[6:7], s[12:13]
	s_nor_b64 s[68:69], s[16:17], s[2:3]
	s_and_saveexec_b64 s[16:17], s[68:69]
	s_cbranch_execz .LBB9_34
; %bb.33:                               ;   in Loop: Header=BB9_9 Depth=2
	v_mad_u64_u32 v[62:63], s[68:69], s42, v26, 0
	v_add3_u32 v63, v63, v57, v56
	v_lshl_add_u64 v[56:57], v[62:63], 1, v[36:37]
	global_load_ushort v49, v[56:57], off
.LBB9_34:                               ;   in Loop: Header=BB9_9 Depth=2
	s_or_b64 exec, exec, s[16:17]
	s_or_b64 s[16:17], s[6:7], s[14:15]
	s_nor_b64 s[68:69], s[16:17], s[2:3]
	v_mov_b32_e32 v51, 0
	s_and_saveexec_b64 s[16:17], s[68:69]
	s_cbranch_execz .LBB9_36
; %bb.35:                               ;   in Loop: Header=BB9_9 Depth=2
	v_mad_u64_u32 v[56:57], s[68:69], s42, v28, 0
	v_add3_u32 v57, v57, v59, v58
	v_lshl_add_u64 v[36:37], v[56:57], 1, v[36:37]
	global_load_ushort v51, v[36:37], off
.LBB9_36:                               ;   in Loop: Header=BB9_9 Depth=2
	s_or_b64 exec, exec, s[16:17]
	v_mul_lo_u32 v36, s25, v30
	v_mul_lo_u32 v37, s24, v31
	v_mad_u64_u32 v[30:31], s[16:17], s24, v30, 0
	s_or_b64 s[68:69], s[2:3], s[10:11]
	v_add3_u32 v31, v31, v37, v36
	s_nor_b64 s[10:11], vcc, s[68:69]
	s_and_saveexec_b64 s[70:71], s[10:11]
	s_cbranch_execz .LBB9_39
; %bb.37:                               ;   in Loop: Header=BB9_9 Depth=2
	ds_read_u16 v36, v44
	s_waitcnt vmcnt(0)
	v_cmp_u_f16_e64 s[16:17], v50, v50
	s_waitcnt lgkmcnt(0)
	v_cmp_lt_f16_e64 s[10:11], v36, v50
	s_or_b64 s[10:11], s[10:11], s[16:17]
	s_and_b64 exec, exec, s[10:11]
	s_cbranch_execz .LBB9_39
; %bb.38:                               ;   in Loop: Header=BB9_9 Depth=2
	v_lshl_add_u64 v[36:37], v[30:31], 0, v[24:25]
	ds_write_b16 v44, v50
	ds_write_b64 v45, v[36:37]
.LBB9_39:                               ;   in Loop: Header=BB9_9 Depth=2
	s_or_b64 exec, exec, s[70:71]
	s_or_b64 s[16:17], s[2:3], s[12:13]
	s_nor_b64 s[10:11], vcc, s[16:17]
	s_and_saveexec_b64 s[70:71], s[10:11]
	s_cbranch_execz .LBB9_42
; %bb.40:                               ;   in Loop: Header=BB9_9 Depth=2
	ds_read_u16 v36, v44
	s_waitcnt vmcnt(0)
	v_cmp_u_f16_e64 s[12:13], v2, v2
	s_waitcnt lgkmcnt(0)
	v_cmp_lt_f16_e64 s[10:11], v36, v2
	s_or_b64 s[10:11], s[10:11], s[12:13]
	s_and_b64 exec, exec, s[10:11]
	s_cbranch_execz .LBB9_42
; %bb.41:                               ;   in Loop: Header=BB9_9 Depth=2
	v_lshl_add_u64 v[36:37], v[30:31], 0, v[26:27]
	ds_write_b16 v44, v2
	ds_write_b64 v45, v[36:37]
.LBB9_42:                               ;   in Loop: Header=BB9_9 Depth=2
	s_or_b64 exec, exec, s[70:71]
	s_or_b64 s[12:13], s[2:3], s[14:15]
	s_nor_b64 s[10:11], vcc, s[12:13]
	s_and_saveexec_b64 s[14:15], s[10:11]
	s_cbranch_execz .LBB9_45
; %bb.43:                               ;   in Loop: Header=BB9_9 Depth=2
	s_waitcnt vmcnt(0)
	ds_read_u16 v2, v44
	v_cmp_u_f16_e64 s[10:11], v52, v52
	s_waitcnt lgkmcnt(0)
	v_cmp_lt_f16_e32 vcc, v2, v52
	s_or_b64 s[10:11], vcc, s[10:11]
	s_and_b64 exec, exec, s[10:11]
	s_cbranch_execz .LBB9_45
; %bb.44:                               ;   in Loop: Header=BB9_9 Depth=2
	v_lshl_add_u64 v[30:31], v[30:31], 0, v[28:29]
	ds_write_b16 v44, v52
	ds_write_b64 v45, v[30:31]
.LBB9_45:                               ;   in Loop: Header=BB9_9 Depth=2
	s_or_b64 exec, exec, s[14:15]
	s_waitcnt vmcnt(0)
	v_mul_lo_u32 v2, s25, v34
	v_mul_lo_u32 v35, s24, v35
	v_mad_u64_u32 v[30:31], s[10:11], s24, v34, 0
	v_add3_u32 v31, v31, v35, v2
	s_nor_b64 s[10:11], s[8:9], s[68:69]
	s_and_saveexec_b64 s[14:15], s[10:11]
	s_cbranch_execz .LBB9_48
; %bb.46:                               ;   in Loop: Header=BB9_9 Depth=2
	ds_read_u16 v2, v44
	v_cmp_u_f16_e64 s[10:11], v38, v38
	s_waitcnt lgkmcnt(0)
	v_cmp_lt_f16_e32 vcc, v2, v38
	s_or_b64 s[10:11], vcc, s[10:11]
	s_and_b64 exec, exec, s[10:11]
	s_cbranch_execz .LBB9_48
; %bb.47:                               ;   in Loop: Header=BB9_9 Depth=2
	v_lshl_add_u64 v[34:35], v[30:31], 0, v[24:25]
	ds_write_b16 v44, v38
	ds_write_b64 v45, v[34:35]
.LBB9_48:                               ;   in Loop: Header=BB9_9 Depth=2
	s_or_b64 exec, exec, s[14:15]
	s_nor_b64 s[10:11], s[8:9], s[16:17]
	s_and_saveexec_b64 s[14:15], s[10:11]
	s_cbranch_execz .LBB9_51
; %bb.49:                               ;   in Loop: Header=BB9_9 Depth=2
	ds_read_u16 v2, v44
	v_cmp_u_f16_e64 s[10:11], v53, v53
	s_waitcnt lgkmcnt(0)
	v_cmp_lt_f16_e32 vcc, v2, v53
	s_or_b64 s[10:11], vcc, s[10:11]
	s_and_b64 exec, exec, s[10:11]
	s_cbranch_execz .LBB9_51
; %bb.50:                               ;   in Loop: Header=BB9_9 Depth=2
	v_lshl_add_u64 v[34:35], v[30:31], 0, v[26:27]
	ds_write_b16 v44, v53
	ds_write_b64 v45, v[34:35]
.LBB9_51:                               ;   in Loop: Header=BB9_9 Depth=2
	s_or_b64 exec, exec, s[14:15]
	;; [unrolled: 17-line block ×3, first 2 shown]
	v_mul_lo_u32 v2, s25, v32
	v_mul_lo_u32 v33, s24, v33
	v_mad_u64_u32 v[30:31], s[8:9], s24, v32, 0
	v_add3_u32 v31, v31, v33, v2
	s_nor_b64 s[8:9], s[6:7], s[68:69]
	s_and_saveexec_b64 s[10:11], s[8:9]
	s_cbranch_execz .LBB9_57
; %bb.55:                               ;   in Loop: Header=BB9_9 Depth=2
	ds_read_u16 v2, v44
	v_cmp_u_f16_e64 s[8:9], v54, v54
	s_waitcnt lgkmcnt(0)
	v_cmp_lt_f16_e32 vcc, v2, v54
	s_or_b64 s[8:9], vcc, s[8:9]
	s_and_b64 exec, exec, s[8:9]
	s_cbranch_execz .LBB9_57
; %bb.56:                               ;   in Loop: Header=BB9_9 Depth=2
	v_lshl_add_u64 v[24:25], v[30:31], 0, v[24:25]
	ds_write_b16 v44, v54
	ds_write_b64 v45, v[24:25]
.LBB9_57:                               ;   in Loop: Header=BB9_9 Depth=2
	s_or_b64 exec, exec, s[10:11]
	s_nor_b64 s[8:9], s[6:7], s[16:17]
	s_and_saveexec_b64 s[10:11], s[8:9]
	s_cbranch_execz .LBB9_60
; %bb.58:                               ;   in Loop: Header=BB9_9 Depth=2
	ds_read_u16 v2, v44
	v_cmp_u_f16_e64 s[8:9], v49, v49
	s_waitcnt lgkmcnt(0)
	v_cmp_lt_f16_e32 vcc, v2, v49
	s_or_b64 s[8:9], vcc, s[8:9]
	s_and_b64 exec, exec, s[8:9]
	s_cbranch_execz .LBB9_60
; %bb.59:                               ;   in Loop: Header=BB9_9 Depth=2
	v_lshl_add_u64 v[24:25], v[30:31], 0, v[26:27]
	ds_write_b16 v44, v49
	ds_write_b64 v45, v[24:25]
.LBB9_60:                               ;   in Loop: Header=BB9_9 Depth=2
	s_or_b64 exec, exec, s[10:11]
	;; [unrolled: 17-line block ×3, first 2 shown]
	s_branch .LBB9_17
.LBB9_64:                               ;   in Loop: Header=BB9_9 Depth=2
	v_cmp_lt_i64_e32 vcc, v[14:15], v[16:17]
	s_and_saveexec_b64 s[10:11], vcc
	s_cbranch_execz .LBB9_75
; %bb.65:                               ;   in Loop: Header=BB9_9 Depth=2
	v_cmp_lt_i64_e32 vcc, v[20:21], v[22:23]
	s_mov_b64 s[12:13], 0
	v_mov_b64_e32 v[24:25], v[14:15]
	s_branch .LBB9_67
.LBB9_66:                               ;   in Loop: Header=BB9_67 Depth=3
	s_or_b64 exec, exec, s[14:15]
	v_lshl_add_u64 v[24:25], v[24:25], 0, s[36:37]
	v_cmp_ge_i64_e64 s[6:7], v[24:25], v[16:17]
	s_or_b64 s[12:13], s[6:7], s[12:13]
	s_andn2_b64 exec, exec, s[12:13]
	s_cbranch_execz .LBB9_75
.LBB9_67:                               ;   Parent Loop BB9_6 Depth=1
                                        ;     Parent Loop BB9_9 Depth=2
                                        ; =>    This Loop Header: Depth=3
                                        ;         Child Loop BB9_70 Depth 4
                                        ;           Child Loop BB9_73 Depth 5
	s_and_saveexec_b64 s[14:15], vcc
	s_cbranch_execz .LBB9_66
; %bb.68:                               ;   in Loop: Header=BB9_67 Depth=3
	v_mul_lo_u32 v2, v25, s40
	v_mul_lo_u32 v28, v24, s41
	v_mad_u64_u32 v[26:27], s[6:7], v24, s40, 0
	v_add3_u32 v27, v27, v28, v2
	v_mul_lo_u32 v2, v25, s24
	v_mul_lo_u32 v30, v24, s25
	v_mad_u64_u32 v[28:29], s[6:7], v24, s24, 0
	v_lshl_add_u64 v[26:27], v[26:27], 1, s[28:29]
	v_add3_u32 v29, v29, v30, v2
	s_mov_b64 s[16:17], 0
	v_mov_b64_e32 v[30:31], v[20:21]
	s_branch .LBB9_70
.LBB9_69:                               ;   in Loop: Header=BB9_70 Depth=4
	s_or_b64 exec, exec, s[68:69]
	v_lshl_add_u64 v[30:31], v[30:31], 0, s[52:53]
	v_cmp_ge_i64_e64 s[6:7], v[30:31], v[22:23]
	s_or_b64 s[16:17], s[6:7], s[16:17]
	s_andn2_b64 exec, exec, s[16:17]
	s_cbranch_execz .LBB9_66
.LBB9_70:                               ;   Parent Loop BB9_6 Depth=1
                                        ;     Parent Loop BB9_9 Depth=2
                                        ;       Parent Loop BB9_67 Depth=3
                                        ; =>      This Loop Header: Depth=4
                                        ;           Child Loop BB9_73 Depth 5
	s_and_saveexec_b64 s[68:69], s[4:5]
	s_cbranch_execz .LBB9_69
; %bb.71:                               ;   in Loop: Header=BB9_70 Depth=4
	v_mul_lo_u32 v2, v31, s42
	v_mul_lo_u32 v34, v30, s43
	v_mad_u64_u32 v[32:33], s[6:7], v30, s42, 0
	v_add3_u32 v33, v33, v34, v2
	v_lshl_add_u64 v[32:33], v[32:33], 1, v[26:27]
	v_lshl_add_u64 v[34:35], v[30:31], 0, v[28:29]
	s_mov_b64 s[70:71], 0
	v_mov_b32_e32 v2, v47
	v_mov_b32_e32 v49, v46
	v_mov_b64_e32 v[36:37], v[4:5]
	v_mov_b64_e32 v[38:39], v[0:1]
	s_branch .LBB9_73
.LBB9_72:                               ;   in Loop: Header=BB9_73 Depth=5
	s_or_b64 exec, exec, s[6:7]
	v_lshl_add_u64 v[38:39], v[38:39], 0, s[44:45]
	v_cmp_le_i64_e64 s[6:7], s[20:21], v[38:39]
	v_lshl_add_u64 v[36:37], v[36:37], 0, s[38:39]
	v_add_u32_e32 v49, s79, v49
	s_or_b64 s[70:71], s[6:7], s[70:71]
	v_add_u32_e32 v2, s80, v2
	s_andn2_b64 exec, exec, s[70:71]
	s_cbranch_execz .LBB9_69
.LBB9_73:                               ;   Parent Loop BB9_6 Depth=1
                                        ;     Parent Loop BB9_9 Depth=2
                                        ;       Parent Loop BB9_67 Depth=3
                                        ;         Parent Loop BB9_70 Depth=4
                                        ; =>        This Inner Loop Header: Depth=5
	v_lshl_add_u64 v[50:51], v[36:37], 1, v[32:33]
	global_load_ushort v50, v[50:51], off
	ds_read_u16 v51, v49
	s_waitcnt vmcnt(0) lgkmcnt(0)
	v_cmp_lt_f16_e64 s[6:7], v51, v50
	v_cmp_u_f16_e64 s[8:9], v50, v50
	s_or_b64 s[8:9], s[6:7], s[8:9]
	s_and_saveexec_b64 s[6:7], s[8:9]
	s_cbranch_execz .LBB9_72
; %bb.74:                               ;   in Loop: Header=BB9_73 Depth=5
	ds_write_b16 v49, v50
	ds_write_b64 v2, v[34:35]
	s_branch .LBB9_72
.LBB9_75:                               ;   in Loop: Header=BB9_9 Depth=2
	s_or_b64 exec, exec, s[10:11]
	s_and_saveexec_b64 s[6:7], s[4:5]
	s_cbranch_execz .LBB9_8
.LBB9_76:                               ;   in Loop: Header=BB9_9 Depth=2
	v_lshl_add_u64 v[22:23], v[12:13], 0, v[18:19]
	v_lshl_add_u64 v[20:21], v[22:23], 3, s[26:27]
	v_mul_lo_u32 v2, s20, v21
	v_mul_lo_u32 v19, s21, v20
	v_mad_u64_u32 v[20:21], s[8:9], s20, v20, v[8:9]
	v_lshl_add_u64 v[22:23], v[22:23], 1, s[60:61]
	v_add3_u32 v21, v19, v21, v2
	v_mul_lo_u32 v2, s20, v23
	v_mul_lo_u32 v19, s21, v22
	v_mad_u64_u32 v[22:23], s[8:9], s20, v22, v[10:11]
	v_add3_u32 v23, v19, v23, v2
	s_mov_b64 s[8:9], 0
	v_mov_b32_e32 v2, v47
	v_mov_b32_e32 v19, v46
	v_mov_b64_e32 v[24:25], v[0:1]
.LBB9_77:                               ;   Parent Loop BB9_6 Depth=1
                                        ;     Parent Loop BB9_9 Depth=2
                                        ; =>    This Inner Loop Header: Depth=3
	ds_read_u16 v28, v19
	ds_read_b64 v[26:27], v2
	v_lshl_add_u64 v[24:25], v[24:25], 0, s[44:45]
	v_cmp_le_i64_e32 vcc, s[20:21], v[24:25]
	ds_write_b16 v19, v48
	ds_write_b64 v2, v[60:61]
	v_add_u32_e32 v19, s79, v19
	v_add_u32_e32 v2, s80, v2
	s_or_b64 s[8:9], vcc, s[8:9]
	s_waitcnt lgkmcnt(3)
	global_store_short v[22:23], v28, off
	s_waitcnt lgkmcnt(2)
	global_store_dwordx2 v[20:21], v[26:27], off
	v_lshl_add_u64 v[20:21], v[20:21], 0, s[58:59]
	v_lshl_add_u64 v[22:23], v[22:23], 0, s[62:63]
	s_andn2_b64 exec, exec, s[8:9]
	s_cbranch_execnz .LBB9_77
	s_branch .LBB9_8
.LBB9_78:
	s_endpgm
	.section	.rodata,"a",@progbits
	.p2align	6, 0x0
	.amdhsa_kernel _ZN2at6native12_GLOBAL__N_121max_pool_forward_nhwcIN3c104HalfElEEvPKT_iT0_S8_S8_S8_S8_iiiiiiiiS8_S8_S8_S8_iiPS5_Pl
		.amdhsa_group_segment_fixed_size 0
		.amdhsa_private_segment_fixed_size 0
		.amdhsa_kernarg_size 400
		.amdhsa_user_sgpr_count 2
		.amdhsa_user_sgpr_dispatch_ptr 0
		.amdhsa_user_sgpr_queue_ptr 0
		.amdhsa_user_sgpr_kernarg_segment_ptr 1
		.amdhsa_user_sgpr_dispatch_id 0
		.amdhsa_user_sgpr_kernarg_preload_length 0
		.amdhsa_user_sgpr_kernarg_preload_offset 0
		.amdhsa_user_sgpr_private_segment_size 0
		.amdhsa_uses_dynamic_stack 0
		.amdhsa_enable_private_segment 0
		.amdhsa_system_sgpr_workgroup_id_x 1
		.amdhsa_system_sgpr_workgroup_id_y 1
		.amdhsa_system_sgpr_workgroup_id_z 1
		.amdhsa_system_sgpr_workgroup_info 0
		.amdhsa_system_vgpr_workitem_id 2
		.amdhsa_next_free_vgpr 64
		.amdhsa_next_free_sgpr 81
		.amdhsa_accum_offset 64
		.amdhsa_reserve_vcc 1
		.amdhsa_float_round_mode_32 0
		.amdhsa_float_round_mode_16_64 0
		.amdhsa_float_denorm_mode_32 3
		.amdhsa_float_denorm_mode_16_64 3
		.amdhsa_dx10_clamp 1
		.amdhsa_ieee_mode 1
		.amdhsa_fp16_overflow 0
		.amdhsa_tg_split 0
		.amdhsa_exception_fp_ieee_invalid_op 0
		.amdhsa_exception_fp_denorm_src 0
		.amdhsa_exception_fp_ieee_div_zero 0
		.amdhsa_exception_fp_ieee_overflow 0
		.amdhsa_exception_fp_ieee_underflow 0
		.amdhsa_exception_fp_ieee_inexact 0
		.amdhsa_exception_int_div_zero 0
	.end_amdhsa_kernel
	.section	.text._ZN2at6native12_GLOBAL__N_121max_pool_forward_nhwcIN3c104HalfElEEvPKT_iT0_S8_S8_S8_S8_iiiiiiiiS8_S8_S8_S8_iiPS5_Pl,"axG",@progbits,_ZN2at6native12_GLOBAL__N_121max_pool_forward_nhwcIN3c104HalfElEEvPKT_iT0_S8_S8_S8_S8_iiiiiiiiS8_S8_S8_S8_iiPS5_Pl,comdat
.Lfunc_end9:
	.size	_ZN2at6native12_GLOBAL__N_121max_pool_forward_nhwcIN3c104HalfElEEvPKT_iT0_S8_S8_S8_S8_iiiiiiiiS8_S8_S8_S8_iiPS5_Pl, .Lfunc_end9-_ZN2at6native12_GLOBAL__N_121max_pool_forward_nhwcIN3c104HalfElEEvPKT_iT0_S8_S8_S8_S8_iiiiiiiiS8_S8_S8_S8_iiPS5_Pl
                                        ; -- End function
	.set _ZN2at6native12_GLOBAL__N_121max_pool_forward_nhwcIN3c104HalfElEEvPKT_iT0_S8_S8_S8_S8_iiiiiiiiS8_S8_S8_S8_iiPS5_Pl.num_vgpr, 64
	.set _ZN2at6native12_GLOBAL__N_121max_pool_forward_nhwcIN3c104HalfElEEvPKT_iT0_S8_S8_S8_S8_iiiiiiiiS8_S8_S8_S8_iiPS5_Pl.num_agpr, 0
	.set _ZN2at6native12_GLOBAL__N_121max_pool_forward_nhwcIN3c104HalfElEEvPKT_iT0_S8_S8_S8_S8_iiiiiiiiS8_S8_S8_S8_iiPS5_Pl.numbered_sgpr, 81
	.set _ZN2at6native12_GLOBAL__N_121max_pool_forward_nhwcIN3c104HalfElEEvPKT_iT0_S8_S8_S8_S8_iiiiiiiiS8_S8_S8_S8_iiPS5_Pl.num_named_barrier, 0
	.set _ZN2at6native12_GLOBAL__N_121max_pool_forward_nhwcIN3c104HalfElEEvPKT_iT0_S8_S8_S8_S8_iiiiiiiiS8_S8_S8_S8_iiPS5_Pl.private_seg_size, 0
	.set _ZN2at6native12_GLOBAL__N_121max_pool_forward_nhwcIN3c104HalfElEEvPKT_iT0_S8_S8_S8_S8_iiiiiiiiS8_S8_S8_S8_iiPS5_Pl.uses_vcc, 1
	.set _ZN2at6native12_GLOBAL__N_121max_pool_forward_nhwcIN3c104HalfElEEvPKT_iT0_S8_S8_S8_S8_iiiiiiiiS8_S8_S8_S8_iiPS5_Pl.uses_flat_scratch, 0
	.set _ZN2at6native12_GLOBAL__N_121max_pool_forward_nhwcIN3c104HalfElEEvPKT_iT0_S8_S8_S8_S8_iiiiiiiiS8_S8_S8_S8_iiPS5_Pl.has_dyn_sized_stack, 0
	.set _ZN2at6native12_GLOBAL__N_121max_pool_forward_nhwcIN3c104HalfElEEvPKT_iT0_S8_S8_S8_S8_iiiiiiiiS8_S8_S8_S8_iiPS5_Pl.has_recursion, 0
	.set _ZN2at6native12_GLOBAL__N_121max_pool_forward_nhwcIN3c104HalfElEEvPKT_iT0_S8_S8_S8_S8_iiiiiiiiS8_S8_S8_S8_iiPS5_Pl.has_indirect_call, 0
	.section	.AMDGPU.csdata,"",@progbits
; Kernel info:
; codeLenInByte = 4428
; TotalNumSgprs: 87
; NumVgprs: 64
; NumAgprs: 0
; TotalNumVgprs: 64
; ScratchSize: 0
; MemoryBound: 0
; FloatMode: 240
; IeeeMode: 1
; LDSByteSize: 0 bytes/workgroup (compile time only)
; SGPRBlocks: 10
; VGPRBlocks: 7
; NumSGPRsForWavesPerEU: 87
; NumVGPRsForWavesPerEU: 64
; AccumOffset: 64
; Occupancy: 8
; WaveLimiterHint : 1
; COMPUTE_PGM_RSRC2:SCRATCH_EN: 0
; COMPUTE_PGM_RSRC2:USER_SGPR: 2
; COMPUTE_PGM_RSRC2:TRAP_HANDLER: 0
; COMPUTE_PGM_RSRC2:TGID_X_EN: 1
; COMPUTE_PGM_RSRC2:TGID_Y_EN: 1
; COMPUTE_PGM_RSRC2:TGID_Z_EN: 1
; COMPUTE_PGM_RSRC2:TIDIG_COMP_CNT: 2
; COMPUTE_PGM_RSRC3_GFX90A:ACCUM_OFFSET: 15
; COMPUTE_PGM_RSRC3_GFX90A:TG_SPLIT: 0
	.section	.text._ZN2at6native12_GLOBAL__N_121max_pool_forward_nchwIN3c104HalfEiEEvT0_PKT_llliiiiiiiiiiPS6_Pl,"axG",@progbits,_ZN2at6native12_GLOBAL__N_121max_pool_forward_nchwIN3c104HalfEiEEvT0_PKT_llliiiiiiiiiiPS6_Pl,comdat
	.globl	_ZN2at6native12_GLOBAL__N_121max_pool_forward_nchwIN3c104HalfEiEEvT0_PKT_llliiiiiiiiiiPS6_Pl ; -- Begin function _ZN2at6native12_GLOBAL__N_121max_pool_forward_nchwIN3c104HalfEiEEvT0_PKT_llliiiiiiiiiiPS6_Pl
	.p2align	8
	.type	_ZN2at6native12_GLOBAL__N_121max_pool_forward_nchwIN3c104HalfEiEEvT0_PKT_llliiiiiiiiiiPS6_Pl,@function
_ZN2at6native12_GLOBAL__N_121max_pool_forward_nchwIN3c104HalfEiEEvT0_PKT_llliiiiiiiiiiPS6_Pl: ; @_ZN2at6native12_GLOBAL__N_121max_pool_forward_nchwIN3c104HalfEiEEvT0_PKT_llliiiiiiiiiiPS6_Pl
; %bb.0:
	s_load_dword s6, s[0:1], 0x0
	s_load_dword s3, s[0:1], 0x6c
	v_mov_b32_e32 v1, 0
	v_mov_b32_e32 v2, s2
	s_waitcnt lgkmcnt(0)
	s_ashr_i32 s7, s6, 31
	s_add_u32 s4, s0, 0x60
	s_addc_u32 s5, s1, 0
	s_and_b32 s3, s3, 0xffff
	v_mad_u64_u32 v[0:1], s[8:9], s3, v2, v[0:1]
	v_cmp_gt_i64_e32 vcc, s[6:7], v[0:1]
	s_and_saveexec_b64 s[8:9], vcc
	s_cbranch_execz .LBB10_11
; %bb.1:
	s_load_dwordx8 s[8:15], s[0:1], 0x28
	s_load_dwordx2 s[24:25], s[0:1], 0x48
	s_load_dwordx2 s[26:27], s[0:1], 0x8
	s_load_dwordx4 s[16:19], s[0:1], 0x18
	s_load_dwordx4 s[20:23], s[0:1], 0x50
	s_load_dword s2, s[4:5], 0x0
	s_waitcnt lgkmcnt(0)
	s_abs_i32 s48, s9
	v_cvt_f32_u32_e32 v2, s48
	s_abs_i32 s52, s8
	v_cvt_f32_u32_e32 v3, s52
	s_add_i32 s0, s10, -1
	v_rcp_iflag_f32_e32 v2, v2
	s_mul_i32 s33, s24, s0
	s_add_i32 s0, s11, -1
	v_rcp_iflag_f32_e32 v3, v3
	v_mul_f32_e32 v2, 0x4f7ffffe, v2
	v_cvt_u32_f32_e32 v2, v2
	s_mul_i32 s49, s25, s0
	s_sub_i32 s0, 0, s48
	s_max_u32 s50, s24, 1
	v_mul_lo_u32 v4, s0, v2
	v_mul_hi_u32 v4, v2, v4
	v_add_u32_e32 v10, v2, v4
	v_mul_f32_e32 v2, 0x4f7ffffe, v3
	v_cvt_f32_u32_e32 v3, s50
	s_max_u32 s51, s25, 1
	v_cvt_f32_u32_e32 v5, s51
	v_cvt_u32_f32_e32 v2, v2
	v_rcp_iflag_f32_e32 v3, v3
	s_sub_i32 s0, 0, s52
	v_rcp_iflag_f32_e32 v5, v5
	v_mul_lo_u32 v4, s0, v2
	v_mul_f32_e32 v3, 0x4f7ffffe, v3
	v_mul_hi_u32 v4, v2, v4
	v_cvt_u32_f32_e32 v3, v3
	v_add_u32_e32 v11, v2, v4
	v_mul_f32_e32 v4, 0x4f7ffffe, v5
	v_cvt_u32_f32_e32 v4, v4
	s_sub_i32 s0, 0, s50
	v_mul_lo_u32 v2, s0, v3
	v_mul_hi_u32 v2, v3, v2
	s_sub_i32 s0, 0, s51
	v_add_u32_e32 v12, v3, v2
	v_mul_lo_u32 v2, s0, v4
	s_mul_i32 s0, s18, s17
	s_mul_hi_u32 s1, s18, s16
	s_add_i32 s0, s1, s0
	s_mul_i32 s1, s19, s16
	s_add_i32 s1, s0, s1
	s_mul_i32 s0, s18, s16
	s_lshl_b64 s[28:29], s[0:1], 1
	s_ashr_i32 s0, s24, 31
	s_mul_hi_u32 s1, s18, s24
	s_mul_i32 s0, s18, s0
	s_add_i32 s0, s1, s0
	s_mul_i32 s1, s19, s24
	v_mul_hi_u32 v2, v4, v2
	s_add_i32 s31, s0, s1
	s_mul_i32 s30, s24, s18
	s_ashr_i32 s1, s25, 31
	s_mov_b32 s0, s25
	s_add_i32 s33, s33, 1
	s_add_i32 s49, s49, 1
	s_mul_i32 s10, s2, s3
	s_mov_b32 s11, 0
	s_ashr_i32 s53, s9, 31
	s_ashr_i32 s54, s8, 31
	v_add_u32_e32 v13, v4, v2
	s_sub_i32 s17, 0, s15
	s_lshl_b64 s[34:35], s[30:31], 1
	s_lshl_b64 s[36:37], s[0:1], 1
	s_mov_b64 s[38:39], 0
	s_branch .LBB10_4
.LBB10_2:                               ;   in Loop: Header=BB10_4 Depth=1
	s_or_b64 exec, exec, s[42:43]
.LBB10_3:                               ;   in Loop: Header=BB10_4 Depth=1
	s_or_b64 exec, exec, s[40:41]
	v_lshl_add_u64 v[2:3], v[0:1], 1, s[20:21]
	global_store_short v[2:3], v16, off
	v_lshl_add_u64 v[2:3], v[0:1], 3, s[22:23]
	v_lshl_add_u64 v[0:1], v[0:1], 0, s[10:11]
	v_cmp_le_i64_e32 vcc, s[6:7], v[0:1]
	v_ashrrev_i32_e32 v5, 31, v4
	s_or_b64 s[38:39], vcc, s[38:39]
	global_store_dwordx2 v[2:3], v[4:5], off
	s_andn2_b64 exec, exec, s[38:39]
	s_cbranch_execz .LBB10_11
.LBB10_4:                               ; =>This Loop Header: Depth=1
                                        ;     Child Loop BB10_7 Depth 2
                                        ;       Child Loop BB10_9 Depth 3
	v_sub_u32_e32 v3, 0, v0
	v_max_i32_e32 v3, v0, v3
	v_mul_hi_u32 v4, v3, v10
	v_mul_lo_u32 v5, v4, s48
	v_sub_u32_e32 v3, v3, v5
	v_add_u32_e32 v5, 1, v4
	v_cmp_le_u32_e32 vcc, s48, v3
	v_ashrrev_i32_e32 v2, 31, v0
	v_xor_b32_e32 v2, s53, v2
	v_cndmask_b32_e32 v4, v4, v5, vcc
	v_subrev_u32_e32 v5, s48, v3
	v_cndmask_b32_e32 v3, v3, v5, vcc
	v_add_u32_e32 v5, 1, v4
	v_cmp_le_u32_e32 vcc, s48, v3
	v_mov_b32_e32 v16, 0xfffffc00
	s_nop 0
	v_cndmask_b32_e32 v3, v4, v5, vcc
	v_xor_b32_e32 v3, v3, v2
	v_sub_u32_e32 v2, v3, v2
	v_sub_u32_e32 v5, 0, v2
	v_max_i32_e32 v5, v2, v5
	v_mul_hi_u32 v6, v5, v11
	v_mul_lo_u32 v7, v6, s52
	v_sub_u32_e32 v5, v5, v7
	v_add_u32_e32 v7, 1, v6
	v_cmp_le_u32_e32 vcc, s52, v5
	v_ashrrev_i32_e32 v4, 31, v2
	v_xor_b32_e32 v4, s54, v4
	v_cndmask_b32_e32 v6, v6, v7, vcc
	v_subrev_u32_e32 v7, s52, v5
	v_cndmask_b32_e32 v5, v5, v7, vcc
	v_add_u32_e32 v7, 1, v6
	v_cmp_le_u32_e32 vcc, s52, v5
	v_mul_lo_u32 v3, v2, s9
	v_sub_u32_e32 v3, v0, v3
	v_cndmask_b32_e32 v5, v6, v7, vcc
	v_xor_b32_e32 v5, v5, v4
	v_sub_u32_e32 v6, v5, v4
	v_mul_lo_u32 v4, v6, s8
	v_sub_u32_e32 v2, v2, v4
	v_mul_lo_u32 v4, v2, s12
	v_subrev_u32_e32 v2, s14, v4
	v_mul_lo_u32 v7, v3, s13
	v_max_i32_e32 v3, 0, v2
	v_add_u32_e32 v3, s14, v3
	v_cmp_ne_u32_e32 vcc, v3, v4
	v_subrev_u32_e32 v8, s15, v7
	v_add_u32_e32 v5, s33, v2
	v_cndmask_b32_e64 v9, 0, 1, vcc
	v_add_u32_e32 v4, v4, v9
	v_sub_u32_e32 v3, v3, v4
	v_mul_hi_u32 v4, v3, v12
	v_mul_lo_u32 v9, v4, s50
	v_sub_u32_e32 v3, v3, v9
	v_add_u32_e32 v9, 1, v4
	v_cmp_le_u32_e64 s[0:1], s50, v3
	s_nop 1
	v_cndmask_b32_e64 v4, v4, v9, s[0:1]
	v_subrev_u32_e32 v9, s50, v3
	v_cndmask_b32_e64 v3, v3, v9, s[0:1]
	v_add_u32_e32 v9, 1, v4
	v_cmp_le_u32_e64 s[0:1], s50, v3
	s_nop 1
	v_cndmask_b32_e64 v3, v4, v9, s[0:1]
	v_addc_co_u32_e32 v3, vcc, 0, v3, vcc
	v_mad_u64_u32 v[2:3], s[0:1], s24, v3, v[2:3]
	v_max_i32_e32 v3, 0, v8
	v_add_u32_e32 v3, s15, v3
	v_cmp_ne_u32_e32 vcc, v3, v7
	v_mul_lo_u32 v14, v2, s18
	s_nop 0
	v_cndmask_b32_e64 v4, 0, 1, vcc
	v_add_u32_e32 v4, v7, v4
	v_sub_u32_e32 v3, v3, v4
	v_mul_hi_u32 v4, v3, v13
	v_mul_lo_u32 v9, v4, s51
	v_sub_u32_e32 v3, v3, v9
	v_add_u32_e32 v9, 1, v4
	v_cmp_le_u32_e64 s[0:1], s51, v3
	s_nop 1
	v_cndmask_b32_e64 v4, v4, v9, s[0:1]
	v_subrev_u32_e32 v9, s51, v3
	v_cndmask_b32_e64 v3, v3, v9, s[0:1]
	v_add_u32_e32 v9, 1, v4
	v_cmp_le_u32_e64 s[0:1], s51, v3
	s_nop 1
	v_cndmask_b32_e64 v3, v4, v9, s[0:1]
	v_addc_co_u32_e32 v3, vcc, 0, v3, vcc
	v_mul_lo_u32 v9, s25, v3
	v_min_i32_e32 v3, s16, v5
	v_add_u32_e32 v5, v8, v9
	v_add_u32_e32 v4, v5, v14
	v_cmp_lt_i32_e32 vcc, v2, v3
	s_and_saveexec_b64 s[40:41], vcc
	s_cbranch_execz .LBB10_3
; %bb.5:                                ;   in Loop: Header=BB10_4 Depth=1
	v_add_u32_e32 v8, s49, v8
	v_min_i32_e32 v15, s18, v8
	v_add3_u32 v8, s17, v9, v7
	v_ashrrev_i32_e32 v17, 31, v2
	v_ashrrev_i32_e32 v9, 31, v8
	v_mad_u64_u32 v[8:9], s[0:1], s18, v2, v[8:9]
	v_mul_lo_u32 v7, s19, v2
	v_mul_lo_u32 v17, s18, v17
	v_add3_u32 v9, v7, v9, v17
	v_ashrrev_i32_e32 v16, 31, v6
	v_lshlrev_b64 v[8:9], 1, v[8:9]
	v_mad_u64_u32 v[8:9], s[0:1], s28, v6, v[8:9]
	v_mul_lo_u32 v6, s29, v6
	v_mul_lo_u32 v7, s28, v16
	v_add3_u32 v9, v6, v9, v7
	v_cmp_lt_i32_e32 vcc, v5, v15
	v_lshl_add_u64 v[6:7], s[26:27], 0, v[8:9]
	v_mov_b32_e32 v16, 0xfffffc00
	s_mov_b64 s[42:43], 0
	s_branch .LBB10_7
.LBB10_6:                               ;   in Loop: Header=BB10_7 Depth=2
	s_or_b64 exec, exec, s[44:45]
	v_add_u32_e32 v2, s24, v2
	v_cmp_ge_i32_e64 s[0:1], v2, v3
	v_lshl_add_u64 v[6:7], v[6:7], 0, s[34:35]
	s_or_b64 s[42:43], s[0:1], s[42:43]
	v_add_u32_e32 v14, s30, v14
	s_andn2_b64 exec, exec, s[42:43]
	s_cbranch_execz .LBB10_2
.LBB10_7:                               ;   Parent Loop BB10_4 Depth=1
                                        ; =>  This Loop Header: Depth=2
                                        ;       Child Loop BB10_9 Depth 3
	s_and_saveexec_b64 s[44:45], vcc
	s_cbranch_execz .LBB10_6
; %bb.8:                                ;   in Loop: Header=BB10_7 Depth=2
	s_mov_b64 s[46:47], 0
	v_mov_b64_e32 v[8:9], v[6:7]
	v_mov_b32_e32 v17, v5
.LBB10_9:                               ;   Parent Loop BB10_4 Depth=1
                                        ;     Parent Loop BB10_7 Depth=2
                                        ; =>    This Inner Loop Header: Depth=3
	global_load_ushort v18, v[8:9], off
	v_add_u32_e32 v19, v14, v17
	v_add_u32_e32 v17, s25, v17
	v_cmp_ge_i32_e64 s[0:1], v17, v15
	v_lshl_add_u64 v[8:9], v[8:9], 0, s[36:37]
	s_waitcnt vmcnt(0)
	v_cmp_gt_f16_e64 s[2:3], v18, v16
	v_cmp_u_f16_e64 s[4:5], v18, v18
	s_or_b64 s[2:3], s[2:3], s[4:5]
	v_cndmask_b32_e64 v16, v16, v18, s[2:3]
	s_or_b64 s[46:47], s[0:1], s[46:47]
	v_cndmask_b32_e64 v4, v4, v19, s[2:3]
	s_andn2_b64 exec, exec, s[46:47]
	s_cbranch_execnz .LBB10_9
; %bb.10:                               ;   in Loop: Header=BB10_7 Depth=2
	s_or_b64 exec, exec, s[46:47]
	s_branch .LBB10_6
.LBB10_11:
	s_endpgm
	.section	.rodata,"a",@progbits
	.p2align	6, 0x0
	.amdhsa_kernel _ZN2at6native12_GLOBAL__N_121max_pool_forward_nchwIN3c104HalfEiEEvT0_PKT_llliiiiiiiiiiPS6_Pl
		.amdhsa_group_segment_fixed_size 0
		.amdhsa_private_segment_fixed_size 0
		.amdhsa_kernarg_size 352
		.amdhsa_user_sgpr_count 2
		.amdhsa_user_sgpr_dispatch_ptr 0
		.amdhsa_user_sgpr_queue_ptr 0
		.amdhsa_user_sgpr_kernarg_segment_ptr 1
		.amdhsa_user_sgpr_dispatch_id 0
		.amdhsa_user_sgpr_kernarg_preload_length 0
		.amdhsa_user_sgpr_kernarg_preload_offset 0
		.amdhsa_user_sgpr_private_segment_size 0
		.amdhsa_uses_dynamic_stack 0
		.amdhsa_enable_private_segment 0
		.amdhsa_system_sgpr_workgroup_id_x 1
		.amdhsa_system_sgpr_workgroup_id_y 0
		.amdhsa_system_sgpr_workgroup_id_z 0
		.amdhsa_system_sgpr_workgroup_info 0
		.amdhsa_system_vgpr_workitem_id 0
		.amdhsa_next_free_vgpr 20
		.amdhsa_next_free_sgpr 55
		.amdhsa_accum_offset 20
		.amdhsa_reserve_vcc 1
		.amdhsa_float_round_mode_32 0
		.amdhsa_float_round_mode_16_64 0
		.amdhsa_float_denorm_mode_32 3
		.amdhsa_float_denorm_mode_16_64 3
		.amdhsa_dx10_clamp 1
		.amdhsa_ieee_mode 1
		.amdhsa_fp16_overflow 0
		.amdhsa_tg_split 0
		.amdhsa_exception_fp_ieee_invalid_op 0
		.amdhsa_exception_fp_denorm_src 0
		.amdhsa_exception_fp_ieee_div_zero 0
		.amdhsa_exception_fp_ieee_overflow 0
		.amdhsa_exception_fp_ieee_underflow 0
		.amdhsa_exception_fp_ieee_inexact 0
		.amdhsa_exception_int_div_zero 0
	.end_amdhsa_kernel
	.section	.text._ZN2at6native12_GLOBAL__N_121max_pool_forward_nchwIN3c104HalfEiEEvT0_PKT_llliiiiiiiiiiPS6_Pl,"axG",@progbits,_ZN2at6native12_GLOBAL__N_121max_pool_forward_nchwIN3c104HalfEiEEvT0_PKT_llliiiiiiiiiiPS6_Pl,comdat
.Lfunc_end10:
	.size	_ZN2at6native12_GLOBAL__N_121max_pool_forward_nchwIN3c104HalfEiEEvT0_PKT_llliiiiiiiiiiPS6_Pl, .Lfunc_end10-_ZN2at6native12_GLOBAL__N_121max_pool_forward_nchwIN3c104HalfEiEEvT0_PKT_llliiiiiiiiiiPS6_Pl
                                        ; -- End function
	.set _ZN2at6native12_GLOBAL__N_121max_pool_forward_nchwIN3c104HalfEiEEvT0_PKT_llliiiiiiiiiiPS6_Pl.num_vgpr, 20
	.set _ZN2at6native12_GLOBAL__N_121max_pool_forward_nchwIN3c104HalfEiEEvT0_PKT_llliiiiiiiiiiPS6_Pl.num_agpr, 0
	.set _ZN2at6native12_GLOBAL__N_121max_pool_forward_nchwIN3c104HalfEiEEvT0_PKT_llliiiiiiiiiiPS6_Pl.numbered_sgpr, 55
	.set _ZN2at6native12_GLOBAL__N_121max_pool_forward_nchwIN3c104HalfEiEEvT0_PKT_llliiiiiiiiiiPS6_Pl.num_named_barrier, 0
	.set _ZN2at6native12_GLOBAL__N_121max_pool_forward_nchwIN3c104HalfEiEEvT0_PKT_llliiiiiiiiiiPS6_Pl.private_seg_size, 0
	.set _ZN2at6native12_GLOBAL__N_121max_pool_forward_nchwIN3c104HalfEiEEvT0_PKT_llliiiiiiiiiiPS6_Pl.uses_vcc, 1
	.set _ZN2at6native12_GLOBAL__N_121max_pool_forward_nchwIN3c104HalfEiEEvT0_PKT_llliiiiiiiiiiPS6_Pl.uses_flat_scratch, 0
	.set _ZN2at6native12_GLOBAL__N_121max_pool_forward_nchwIN3c104HalfEiEEvT0_PKT_llliiiiiiiiiiPS6_Pl.has_dyn_sized_stack, 0
	.set _ZN2at6native12_GLOBAL__N_121max_pool_forward_nchwIN3c104HalfEiEEvT0_PKT_llliiiiiiiiiiPS6_Pl.has_recursion, 0
	.set _ZN2at6native12_GLOBAL__N_121max_pool_forward_nchwIN3c104HalfEiEEvT0_PKT_llliiiiiiiiiiPS6_Pl.has_indirect_call, 0
	.section	.AMDGPU.csdata,"",@progbits
; Kernel info:
; codeLenInByte = 1284
; TotalNumSgprs: 61
; NumVgprs: 20
; NumAgprs: 0
; TotalNumVgprs: 20
; ScratchSize: 0
; MemoryBound: 0
; FloatMode: 240
; IeeeMode: 1
; LDSByteSize: 0 bytes/workgroup (compile time only)
; SGPRBlocks: 7
; VGPRBlocks: 2
; NumSGPRsForWavesPerEU: 61
; NumVGPRsForWavesPerEU: 20
; AccumOffset: 20
; Occupancy: 8
; WaveLimiterHint : 0
; COMPUTE_PGM_RSRC2:SCRATCH_EN: 0
; COMPUTE_PGM_RSRC2:USER_SGPR: 2
; COMPUTE_PGM_RSRC2:TRAP_HANDLER: 0
; COMPUTE_PGM_RSRC2:TGID_X_EN: 1
; COMPUTE_PGM_RSRC2:TGID_Y_EN: 0
; COMPUTE_PGM_RSRC2:TGID_Z_EN: 0
; COMPUTE_PGM_RSRC2:TIDIG_COMP_CNT: 0
; COMPUTE_PGM_RSRC3_GFX90A:ACCUM_OFFSET: 4
; COMPUTE_PGM_RSRC3_GFX90A:TG_SPLIT: 0
	.section	.text._ZN2at6native12_GLOBAL__N_121max_pool_forward_nchwIN3c104HalfElEEvT0_PKT_llliiiiiiiiiiPS6_Pl,"axG",@progbits,_ZN2at6native12_GLOBAL__N_121max_pool_forward_nchwIN3c104HalfElEEvT0_PKT_llliiiiiiiiiiPS6_Pl,comdat
	.globl	_ZN2at6native12_GLOBAL__N_121max_pool_forward_nchwIN3c104HalfElEEvT0_PKT_llliiiiiiiiiiPS6_Pl ; -- Begin function _ZN2at6native12_GLOBAL__N_121max_pool_forward_nchwIN3c104HalfElEEvT0_PKT_llliiiiiiiiiiPS6_Pl
	.p2align	8
	.type	_ZN2at6native12_GLOBAL__N_121max_pool_forward_nchwIN3c104HalfElEEvT0_PKT_llliiiiiiiiiiPS6_Pl,@function
_ZN2at6native12_GLOBAL__N_121max_pool_forward_nchwIN3c104HalfElEEvT0_PKT_llliiiiiiiiiiPS6_Pl: ; @_ZN2at6native12_GLOBAL__N_121max_pool_forward_nchwIN3c104HalfElEEvT0_PKT_llliiiiiiiiiiPS6_Pl
; %bb.0:
	s_load_dword s3, s[0:1], 0x6c
	s_load_dwordx4 s[16:19], s[0:1], 0x0
	s_add_u32 s4, s0, 0x60
	v_mov_b32_e32 v2, 0
	s_addc_u32 s5, s1, 0
	s_waitcnt lgkmcnt(0)
	s_and_b32 s3, s3, 0xffff
	v_mov_b32_e32 v1, v2
	v_mov_b32_e32 v3, s2
	v_mad_u64_u32 v[0:1], s[6:7], s3, v3, v[0:1]
	v_cmp_gt_i64_e32 vcc, s[16:17], v[0:1]
	s_and_saveexec_b64 s[6:7], vcc
	s_cbranch_execz .LBB11_27
; %bb.1:
	s_load_dwordx8 s[8:15], s[0:1], 0x28
	s_load_dwordx4 s[20:23], s[0:1], 0x18
	s_load_dwordx2 s[6:7], s[0:1], 0x48
	s_load_dwordx4 s[24:27], s[0:1], 0x50
	s_load_dword s2, s[4:5], 0x0
	s_waitcnt lgkmcnt(0)
	v_cvt_f32_u32_e32 v3, s9
	s_add_i32 s0, s10, -1
	s_mul_i32 s53, s6, s0
	s_add_i32 s0, s11, -1
	s_mul_i32 s54, s7, s0
	s_ashr_i32 s11, s6, 31
	s_mov_b32 s10, s6
	v_rcp_iflag_f32_e32 v3, v3
	s_ashr_i32 s33, s9, 31
	s_ashr_i32 s48, s8, 31
	;; [unrolled: 1-line block ×3, first 2 shown]
	s_mov_b32 s50, s12
	s_ashr_i32 s29, s14, 31
	s_ashr_i32 s51, s13, 31
	s_mov_b32 s52, s13
	s_ashr_i32 s13, s15, 31
	s_mov_b32 s12, s15
	s_add_i32 s53, s53, 1
	s_add_i32 s54, s54, 1
	s_ashr_i32 s15, s7, 31
	v_cmp_gt_u64_e64 s[0:1], s[10:11], 1
	s_mov_b32 s28, s14
	s_mov_b32 s14, s7
	s_and_b64 s[0:1], s[0:1], exec
	v_cmp_gt_u64_e64 s[0:1], s[14:15], 1
	s_cselect_b32 s55, s11, 0
	s_cselect_b32 s56, s6, 1
	s_and_b64 s[0:1], s[0:1], exec
	v_mul_f32_e32 v3, 0x4f7ffffe, v3
	s_mul_i32 s0, s22, s21
	s_mul_hi_u32 s1, s22, s20
	v_cvt_u32_f32_e32 v18, v3
	s_cselect_b32 s57, s15, 0
	s_cselect_b32 s58, s7, 1
	s_add_i32 s0, s1, s0
	s_mul_i32 s1, s23, s20
	s_add_i32 s1, s0, s1
	s_mul_i32 s0, s22, s20
	s_mul_i32 s30, s2, s3
	s_mov_b32 s31, 0
	s_lshl_b64 s[34:35], s[0:1], 1
	s_lshl_b64 s[36:37], s[14:15], 1
	s_mov_b64 s[38:39], 0
	s_branch .LBB11_4
.LBB11_2:                               ;   in Loop: Header=BB11_4 Depth=1
	s_or_b64 exec, exec, s[42:43]
.LBB11_3:                               ;   in Loop: Header=BB11_4 Depth=1
	s_or_b64 exec, exec, s[40:41]
	v_lshl_add_u64 v[4:5], v[0:1], 1, s[24:25]
	global_store_short v[4:5], v16, off
	v_lshl_add_u64 v[4:5], v[0:1], 3, s[26:27]
	v_lshl_add_u64 v[0:1], v[0:1], 0, s[30:31]
	v_cmp_le_i64_e32 vcc, s[16:17], v[0:1]
	s_or_b64 s[38:39], vcc, s[38:39]
	global_store_dwordx2 v[4:5], v[8:9], off
	s_andn2_b64 exec, exec, s[38:39]
	s_cbranch_execz .LBB11_27
.LBB11_4:                               ; =>This Loop Header: Depth=1
                                        ;     Child Loop BB11_23 Depth 2
                                        ;       Child Loop BB11_25 Depth 3
	v_or_b32_e32 v3, s33, v1
	v_cmp_ne_u64_e32 vcc, 0, v[2:3]
                                        ; implicit-def: $vgpr6_vgpr7
	s_and_saveexec_b64 s[0:1], vcc
	s_xor_b64 s[2:3], exec, s[0:1]
	s_cbranch_execz .LBB11_6
; %bb.5:                                ;   in Loop: Header=BB11_4 Depth=1
	s_ashr_i32 s4, s33, 31
	s_add_u32 s0, s9, s4
	s_mov_b32 s5, s4
	s_addc_u32 s1, s33, s4
	s_xor_b64 s[40:41], s[0:1], s[4:5]
	v_cvt_f32_u32_e32 v3, s40
	v_cvt_f32_u32_e32 v4, s41
	s_sub_u32 s5, 0, s40
	s_subb_u32 s21, 0, s41
	v_mov_b32_e32 v9, v2
	v_fmac_f32_e32 v3, 0x4f800000, v4
	v_rcp_f32_e32 v3, v3
	s_nop 0
	v_mul_f32_e32 v3, 0x5f7ffffc, v3
	v_mul_f32_e32 v4, 0x2f800000, v3
	v_trunc_f32_e32 v4, v4
	v_fmac_f32_e32 v3, 0xcf800000, v4
	v_cvt_u32_f32_e32 v4, v4
	v_cvt_u32_f32_e32 v3, v3
	v_readfirstlane_b32 s42, v4
	v_readfirstlane_b32 s0, v3
	s_mul_i32 s1, s5, s42
	s_mul_hi_u32 s44, s5, s0
	s_mul_i32 s43, s21, s0
	s_add_i32 s1, s44, s1
	s_add_i32 s1, s1, s43
	s_mul_i32 s45, s5, s0
	s_mul_i32 s44, s0, s1
	s_mul_hi_u32 s46, s0, s45
	s_mul_hi_u32 s43, s0, s1
	s_add_u32 s44, s46, s44
	s_addc_u32 s43, 0, s43
	s_mul_hi_u32 s47, s42, s45
	s_mul_i32 s45, s42, s45
	s_add_u32 s44, s44, s45
	s_mul_hi_u32 s46, s42, s1
	s_addc_u32 s43, s43, s47
	s_addc_u32 s44, s46, 0
	s_mul_i32 s1, s42, s1
	s_add_u32 s1, s43, s1
	s_addc_u32 s43, 0, s44
	s_add_u32 s44, s0, s1
	s_cselect_b64 s[0:1], -1, 0
	s_cmp_lg_u64 s[0:1], 0
	s_addc_u32 s42, s42, s43
	s_mul_i32 s0, s5, s42
	s_mul_hi_u32 s1, s5, s44
	s_add_i32 s0, s1, s0
	s_mul_i32 s21, s21, s44
	s_add_i32 s0, s0, s21
	s_mul_i32 s5, s5, s44
	s_mul_hi_u32 s21, s42, s5
	s_mul_i32 s43, s42, s5
	s_mul_i32 s46, s44, s0
	s_mul_hi_u32 s5, s44, s5
	s_mul_hi_u32 s45, s44, s0
	s_add_u32 s5, s5, s46
	s_addc_u32 s45, 0, s45
	s_add_u32 s5, s5, s43
	s_mul_hi_u32 s1, s42, s0
	s_addc_u32 s5, s45, s21
	s_addc_u32 s1, s1, 0
	s_mul_i32 s0, s42, s0
	s_add_u32 s0, s5, s0
	s_addc_u32 s5, 0, s1
	s_add_u32 s21, s44, s0
	v_ashrrev_i32_e32 v4, 31, v1
	s_cselect_b64 s[0:1], -1, 0
	v_mov_b32_e32 v5, v4
	s_cmp_lg_u64 s[0:1], 0
	v_lshl_add_u64 v[6:7], v[0:1], 0, v[4:5]
	s_addc_u32 s5, s42, s5
	v_xor_b32_e32 v5, v6, v4
	v_xor_b32_e32 v3, v7, v4
	v_mad_u64_u32 v[6:7], s[0:1], v5, s5, 0
	v_mul_hi_u32 v8, v5, s21
	v_lshl_add_u64 v[6:7], v[8:9], 0, v[6:7]
	v_mad_u64_u32 v[10:11], s[0:1], v3, s21, 0
	v_add_co_u32_e32 v6, vcc, v6, v10
	v_mad_u64_u32 v[8:9], s[0:1], v3, s5, 0
	s_nop 0
	v_addc_co_u32_e32 v6, vcc, v7, v11, vcc
	v_mov_b32_e32 v7, v2
	s_nop 0
	v_addc_co_u32_e32 v9, vcc, 0, v9, vcc
	v_lshl_add_u64 v[6:7], v[6:7], 0, v[8:9]
	v_mul_lo_u32 v10, s41, v6
	v_mul_lo_u32 v11, s40, v7
	v_mad_u64_u32 v[8:9], s[0:1], s40, v6, 0
	v_add3_u32 v12, v9, v11, v10
	v_sub_u32_e32 v9, v3, v12
	v_mov_b32_e32 v10, s41
	v_sub_co_u32_e32 v5, vcc, v5, v8
	v_xor_b32_e32 v4, s4, v4
	s_nop 0
	v_subb_co_u32_e64 v8, s[0:1], v9, v10, vcc
	v_subrev_co_u32_e64 v9, s[0:1], s40, v5
	v_subb_co_u32_e32 v3, vcc, v3, v12, vcc
	s_nop 0
	v_subbrev_co_u32_e64 v8, s[0:1], 0, v8, s[0:1]
	v_cmp_le_u32_e64 s[0:1], s41, v8
	v_cmp_le_u32_e32 vcc, s41, v3
	s_nop 0
	v_cndmask_b32_e64 v10, 0, -1, s[0:1]
	v_cmp_le_u32_e64 s[0:1], s40, v9
	s_nop 1
	v_cndmask_b32_e64 v9, 0, -1, s[0:1]
	v_cmp_eq_u32_e64 s[0:1], s41, v8
	s_nop 1
	v_cndmask_b32_e64 v13, v10, v9, s[0:1]
	v_lshl_add_u64 v[8:9], v[6:7], 0, 2
	v_lshl_add_u64 v[10:11], v[6:7], 0, 1
	v_cmp_ne_u32_e64 s[0:1], 0, v13
	s_nop 1
	v_cndmask_b32_e64 v9, v11, v9, s[0:1]
	v_cndmask_b32_e64 v11, 0, -1, vcc
	v_cmp_le_u32_e32 vcc, s40, v5
	s_nop 1
	v_cndmask_b32_e64 v5, 0, -1, vcc
	v_cmp_eq_u32_e32 vcc, s41, v3
	s_nop 1
	v_cndmask_b32_e32 v3, v11, v5, vcc
	v_cmp_ne_u32_e32 vcc, 0, v3
	v_cndmask_b32_e64 v5, v10, v8, s[0:1]
	s_nop 0
	v_cndmask_b32_e32 v5, v6, v5, vcc
	v_cndmask_b32_e32 v3, v7, v9, vcc
	v_xor_b32_e32 v5, v5, v4
	v_xor_b32_e32 v3, v3, v4
	v_sub_co_u32_e32 v6, vcc, v5, v4
	s_nop 1
	v_subb_co_u32_e32 v7, vcc, v3, v4, vcc
.LBB11_6:                               ;   in Loop: Header=BB11_4 Depth=1
	s_andn2_saveexec_b64 s[0:1], s[2:3]
	s_cbranch_execz .LBB11_8
; %bb.7:                                ;   in Loop: Header=BB11_4 Depth=1
	s_sub_i32 s2, 0, s9
	v_mul_lo_u32 v3, s2, v18
	v_mul_hi_u32 v3, v18, v3
	v_add_u32_e32 v3, v18, v3
	v_mul_hi_u32 v3, v0, v3
	v_mul_lo_u32 v4, v3, s9
	v_sub_u32_e32 v4, v0, v4
	v_subrev_u32_e32 v5, s9, v4
	v_cmp_le_u32_e32 vcc, s9, v4
	v_mov_b32_e32 v7, v2
	s_nop 0
	v_cndmask_b32_e32 v4, v4, v5, vcc
	v_add_u32_e32 v5, 1, v3
	v_cndmask_b32_e32 v3, v3, v5, vcc
	v_add_u32_e32 v5, 1, v3
	v_cmp_le_u32_e32 vcc, s9, v4
	s_nop 1
	v_cndmask_b32_e32 v6, v3, v5, vcc
.LBB11_8:                               ;   in Loop: Header=BB11_4 Depth=1
	s_or_b64 exec, exec, s[0:1]
	v_or_b32_e32 v3, s48, v7
	v_cmp_ne_u64_e32 vcc, 0, v[2:3]
                                        ; implicit-def: $vgpr4_vgpr5
	s_and_saveexec_b64 s[0:1], vcc
	s_xor_b64 s[2:3], exec, s[0:1]
	s_cbranch_execz .LBB11_10
; %bb.9:                                ;   in Loop: Header=BB11_4 Depth=1
	s_ashr_i32 s4, s48, 31
	s_add_u32 s0, s8, s4
	s_mov_b32 s5, s4
	s_addc_u32 s1, s48, s4
	s_xor_b64 s[40:41], s[0:1], s[4:5]
	v_cvt_f32_u32_e32 v3, s40
	v_cvt_f32_u32_e32 v4, s41
	s_sub_u32 s5, 0, s40
	s_subb_u32 s21, 0, s41
	v_mov_b32_e32 v11, v2
	v_fmac_f32_e32 v3, 0x4f800000, v4
	v_rcp_f32_e32 v3, v3
	s_nop 0
	v_mul_f32_e32 v3, 0x5f7ffffc, v3
	v_mul_f32_e32 v4, 0x2f800000, v3
	v_trunc_f32_e32 v4, v4
	v_fmac_f32_e32 v3, 0xcf800000, v4
	v_cvt_u32_f32_e32 v4, v4
	v_cvt_u32_f32_e32 v3, v3
	v_readfirstlane_b32 s42, v4
	v_readfirstlane_b32 s0, v3
	s_mul_i32 s1, s5, s42
	s_mul_hi_u32 s44, s5, s0
	s_mul_i32 s43, s21, s0
	s_add_i32 s1, s44, s1
	s_add_i32 s1, s1, s43
	s_mul_i32 s45, s5, s0
	s_mul_i32 s44, s0, s1
	s_mul_hi_u32 s46, s0, s45
	s_mul_hi_u32 s43, s0, s1
	s_add_u32 s44, s46, s44
	s_addc_u32 s43, 0, s43
	s_mul_hi_u32 s47, s42, s45
	s_mul_i32 s45, s42, s45
	s_add_u32 s44, s44, s45
	s_mul_hi_u32 s46, s42, s1
	s_addc_u32 s43, s43, s47
	s_addc_u32 s44, s46, 0
	s_mul_i32 s1, s42, s1
	s_add_u32 s1, s43, s1
	s_addc_u32 s43, 0, s44
	s_add_u32 s44, s0, s1
	s_cselect_b64 s[0:1], -1, 0
	s_cmp_lg_u64 s[0:1], 0
	s_addc_u32 s42, s42, s43
	s_mul_i32 s0, s5, s42
	s_mul_hi_u32 s1, s5, s44
	s_add_i32 s0, s1, s0
	s_mul_i32 s21, s21, s44
	s_add_i32 s0, s0, s21
	s_mul_i32 s5, s5, s44
	s_mul_hi_u32 s21, s42, s5
	s_mul_i32 s43, s42, s5
	s_mul_i32 s46, s44, s0
	s_mul_hi_u32 s5, s44, s5
	s_mul_hi_u32 s45, s44, s0
	s_add_u32 s5, s5, s46
	s_addc_u32 s45, 0, s45
	s_add_u32 s5, s5, s43
	s_mul_hi_u32 s1, s42, s0
	s_addc_u32 s5, s45, s21
	s_addc_u32 s1, s1, 0
	s_mul_i32 s0, s42, s0
	s_add_u32 s0, s5, s0
	s_addc_u32 s5, 0, s1
	s_add_u32 s21, s44, s0
	v_ashrrev_i32_e32 v4, 31, v7
	s_cselect_b64 s[0:1], -1, 0
	v_mov_b32_e32 v5, v4
	s_cmp_lg_u64 s[0:1], 0
	v_lshl_add_u64 v[8:9], v[6:7], 0, v[4:5]
	s_addc_u32 s5, s42, s5
	v_xor_b32_e32 v5, v8, v4
	v_xor_b32_e32 v3, v9, v4
	v_mad_u64_u32 v[8:9], s[0:1], v5, s5, 0
	v_mul_hi_u32 v10, v5, s21
	v_lshl_add_u64 v[8:9], v[10:11], 0, v[8:9]
	v_mad_u64_u32 v[12:13], s[0:1], v3, s21, 0
	v_add_co_u32_e32 v8, vcc, v8, v12
	v_mad_u64_u32 v[10:11], s[0:1], v3, s5, 0
	s_nop 0
	v_addc_co_u32_e32 v8, vcc, v9, v13, vcc
	v_mov_b32_e32 v9, v2
	s_nop 0
	v_addc_co_u32_e32 v11, vcc, 0, v11, vcc
	v_lshl_add_u64 v[8:9], v[8:9], 0, v[10:11]
	v_mul_lo_u32 v12, s41, v8
	v_mul_lo_u32 v13, s40, v9
	v_mad_u64_u32 v[10:11], s[0:1], s40, v8, 0
	v_add3_u32 v14, v11, v13, v12
	v_sub_u32_e32 v11, v3, v14
	v_mov_b32_e32 v12, s41
	v_sub_co_u32_e32 v5, vcc, v5, v10
	s_nop 1
	v_subb_co_u32_e64 v10, s[0:1], v11, v12, vcc
	v_subrev_co_u32_e64 v11, s[0:1], s40, v5
	v_subb_co_u32_e32 v3, vcc, v3, v14, vcc
	s_nop 0
	v_subbrev_co_u32_e64 v10, s[0:1], 0, v10, s[0:1]
	v_cmp_le_u32_e64 s[0:1], s41, v10
	v_cmp_le_u32_e32 vcc, s41, v3
	s_nop 0
	v_cndmask_b32_e64 v12, 0, -1, s[0:1]
	v_cmp_le_u32_e64 s[0:1], s40, v11
	s_nop 1
	v_cndmask_b32_e64 v11, 0, -1, s[0:1]
	v_cmp_eq_u32_e64 s[0:1], s41, v10
	s_nop 1
	v_cndmask_b32_e64 v15, v12, v11, s[0:1]
	v_lshl_add_u64 v[10:11], v[8:9], 0, 2
	v_lshl_add_u64 v[12:13], v[8:9], 0, 1
	v_cmp_ne_u32_e64 s[0:1], 0, v15
	s_nop 1
	v_cndmask_b32_e64 v11, v13, v11, s[0:1]
	v_cndmask_b32_e64 v13, 0, -1, vcc
	v_cmp_le_u32_e32 vcc, s40, v5
	s_nop 1
	v_cndmask_b32_e64 v5, 0, -1, vcc
	v_cmp_eq_u32_e32 vcc, s41, v3
	s_nop 1
	v_cndmask_b32_e32 v3, v13, v5, vcc
	v_cmp_ne_u32_e32 vcc, 0, v3
	v_cndmask_b32_e64 v5, v12, v10, s[0:1]
	s_nop 0
	v_cndmask_b32_e32 v5, v8, v5, vcc
	v_xor_b32_e32 v8, s4, v4
	v_cndmask_b32_e32 v3, v9, v11, vcc
	v_xor_b32_e32 v4, v5, v8
	v_xor_b32_e32 v3, v3, v8
	v_sub_co_u32_e32 v4, vcc, v4, v8
	s_nop 1
	v_subb_co_u32_e32 v5, vcc, v3, v8, vcc
.LBB11_10:                              ;   in Loop: Header=BB11_4 Depth=1
	s_andn2_saveexec_b64 s[0:1], s[2:3]
	s_cbranch_execz .LBB11_12
; %bb.11:                               ;   in Loop: Header=BB11_4 Depth=1
	v_cvt_f32_u32_e32 v3, s8
	s_sub_i32 s2, 0, s8
	v_rcp_iflag_f32_e32 v3, v3
	s_nop 0
	v_mul_f32_e32 v3, 0x4f7ffffe, v3
	v_cvt_u32_f32_e32 v3, v3
	v_mul_lo_u32 v4, s2, v3
	v_mul_hi_u32 v4, v3, v4
	v_add_u32_e32 v3, v3, v4
	v_mul_hi_u32 v3, v6, v3
	v_mul_lo_u32 v4, v3, s8
	v_sub_u32_e32 v4, v6, v4
	v_add_u32_e32 v5, 1, v3
	v_subrev_u32_e32 v8, s8, v4
	v_cmp_le_u32_e32 vcc, s8, v4
	s_nop 1
	v_cndmask_b32_e32 v4, v4, v8, vcc
	v_cndmask_b32_e32 v3, v3, v5, vcc
	v_add_u32_e32 v5, 1, v3
	v_cmp_le_u32_e32 vcc, s8, v4
	s_nop 1
	v_cndmask_b32_e32 v4, v3, v5, vcc
	v_mov_b32_e32 v5, v2
.LBB11_12:                              ;   in Loop: Header=BB11_4 Depth=1
	s_or_b64 exec, exec, s[0:1]
	v_mul_lo_u32 v3, v5, s8
	v_mul_lo_u32 v10, v4, s48
	v_mad_u64_u32 v[8:9], s[0:1], v4, s8, 0
	v_add3_u32 v3, v9, v10, v3
	v_sub_co_u32_e32 v14, vcc, v6, v8
	v_mul_lo_u32 v16, v14, s49
	s_nop 0
	v_subb_co_u32_e32 v3, vcc, v7, v3, vcc
	v_mul_lo_u32 v3, v3, s50
	v_mad_u64_u32 v[10:11], s[0:1], v14, s50, 0
	v_add3_u32 v11, v11, v16, v3
	v_mov_b32_e32 v9, s29
	v_subrev_co_u32_e32 v8, vcc, s28, v10
	s_nop 1
	v_subb_co_u32_e32 v9, vcc, v11, v9, vcc
	v_cmp_lt_i64_e32 vcc, 0, v[8:9]
	s_nop 1
	v_cndmask_b32_e32 v13, 0, v9, vcc
	v_cndmask_b32_e32 v12, 0, v8, vcc
	v_lshl_add_u64 v[12:13], v[12:13], 0, s[28:29]
	v_cmp_ne_u64_e32 vcc, v[12:13], v[10:11]
	v_mov_b32_e32 v11, s31
	s_nop 0
	v_cndmask_b32_e64 v10, 0, 1, vcc
	v_mad_u64_u32 v[14:15], s[0:1], v14, s50, v[10:11]
	v_add3_u32 v3, v3, v15, v16
	v_sub_co_u32_e32 v14, vcc, v12, v14
	s_nop 1
	v_subb_co_u32_e32 v15, vcc, v13, v3, vcc
	v_or_b32_e32 v3, s55, v15
	v_cmp_ne_u64_e32 vcc, 0, v[2:3]
                                        ; implicit-def: $vgpr12_vgpr13
	s_and_saveexec_b64 s[0:1], vcc
	s_xor_b64 s[2:3], exec, s[0:1]
	s_cbranch_execz .LBB11_14
; %bb.13:                               ;   in Loop: Header=BB11_4 Depth=1
	v_cvt_f32_u32_e32 v3, s56
	v_cvt_f32_u32_e32 v12, s55
	s_sub_u32 s4, 0, s56
	s_subb_u32 s5, 0, s55
	v_mov_b32_e32 v17, v2
	v_fmac_f32_e32 v3, 0x4f800000, v12
	v_rcp_f32_e32 v3, v3
	s_nop 0
	v_mul_f32_e32 v3, 0x5f7ffffc, v3
	v_mul_f32_e32 v12, 0x2f800000, v3
	v_trunc_f32_e32 v12, v12
	v_fmac_f32_e32 v3, 0xcf800000, v12
	v_cvt_u32_f32_e32 v12, v12
	v_cvt_u32_f32_e32 v3, v3
	v_readfirstlane_b32 s21, v12
	v_readfirstlane_b32 s0, v3
	s_mul_i32 s1, s4, s21
	s_mul_hi_u32 s41, s4, s0
	s_mul_i32 s40, s5, s0
	s_add_i32 s1, s41, s1
	s_mul_i32 s42, s4, s0
	s_add_i32 s1, s1, s40
	s_mul_i32 s41, s0, s1
	s_mul_hi_u32 s43, s0, s42
	s_mul_hi_u32 s40, s0, s1
	s_add_u32 s41, s43, s41
	s_addc_u32 s40, 0, s40
	s_mul_hi_u32 s44, s21, s42
	s_mul_i32 s42, s21, s42
	s_add_u32 s41, s41, s42
	s_mul_hi_u32 s43, s21, s1
	s_addc_u32 s40, s40, s44
	s_addc_u32 s41, s43, 0
	s_mul_i32 s1, s21, s1
	s_add_u32 s1, s40, s1
	s_addc_u32 s40, 0, s41
	s_add_u32 s41, s0, s1
	s_cselect_b64 s[0:1], -1, 0
	s_cmp_lg_u64 s[0:1], 0
	s_addc_u32 s21, s21, s40
	s_mul_i32 s0, s4, s21
	s_mul_hi_u32 s1, s4, s41
	s_add_i32 s0, s1, s0
	s_mul_i32 s5, s5, s41
	s_add_i32 s0, s0, s5
	s_mul_i32 s4, s4, s41
	s_mul_hi_u32 s5, s21, s4
	s_mul_i32 s40, s21, s4
	s_mul_i32 s43, s41, s0
	s_mul_hi_u32 s4, s41, s4
	s_mul_hi_u32 s42, s41, s0
	s_add_u32 s4, s4, s43
	s_addc_u32 s42, 0, s42
	s_add_u32 s4, s4, s40
	s_mul_hi_u32 s1, s21, s0
	s_addc_u32 s4, s42, s5
	s_addc_u32 s1, s1, 0
	s_mul_i32 s0, s21, s0
	s_add_u32 s0, s4, s0
	s_addc_u32 s4, 0, s1
	s_add_u32 s5, s41, s0
	s_cselect_b64 s[0:1], -1, 0
	s_cmp_lg_u64 s[0:1], 0
	s_addc_u32 s4, s21, s4
	v_mad_u64_u32 v[12:13], s[0:1], v14, s4, 0
	v_mul_hi_u32 v16, v14, s5
	v_lshl_add_u64 v[12:13], v[16:17], 0, v[12:13]
	v_mad_u64_u32 v[20:21], s[0:1], v15, s5, 0
	v_add_co_u32_e32 v3, vcc, v12, v20
	v_mad_u64_u32 v[16:17], s[0:1], v15, s4, 0
	s_nop 0
	v_addc_co_u32_e32 v12, vcc, v13, v21, vcc
	v_mov_b32_e32 v13, v2
	s_nop 0
	v_addc_co_u32_e32 v17, vcc, 0, v17, vcc
	v_lshl_add_u64 v[12:13], v[12:13], 0, v[16:17]
	v_mul_lo_u32 v3, s55, v12
	v_mul_lo_u32 v19, s56, v13
	v_mad_u64_u32 v[16:17], s[0:1], s56, v12, 0
	v_add3_u32 v3, v17, v19, v3
	v_sub_u32_e32 v17, v15, v3
	v_mov_b32_e32 v19, s55
	v_sub_co_u32_e32 v14, vcc, v14, v16
	v_lshl_add_u64 v[20:21], v[12:13], 0, 1
	s_nop 0
	v_subb_co_u32_e64 v16, s[0:1], v17, v19, vcc
	v_subrev_co_u32_e64 v17, s[0:1], s56, v14
	v_subb_co_u32_e32 v3, vcc, v15, v3, vcc
	s_nop 0
	v_subbrev_co_u32_e64 v16, s[0:1], 0, v16, s[0:1]
	v_cmp_le_u32_e64 s[0:1], s55, v16
	v_cmp_le_u32_e32 vcc, s55, v3
	s_nop 0
	v_cndmask_b32_e64 v19, 0, -1, s[0:1]
	v_cmp_le_u32_e64 s[0:1], s56, v17
	v_cndmask_b32_e64 v15, 0, -1, vcc
	v_cmp_le_u32_e32 vcc, s56, v14
	v_cndmask_b32_e64 v17, 0, -1, s[0:1]
	v_cmp_eq_u32_e64 s[0:1], s55, v16
	v_cndmask_b32_e64 v14, 0, -1, vcc
	v_cmp_eq_u32_e32 vcc, s55, v3
	v_cndmask_b32_e64 v19, v19, v17, s[0:1]
	v_lshl_add_u64 v[16:17], v[12:13], 0, 2
	v_cmp_ne_u32_e64 s[0:1], 0, v19
	v_cndmask_b32_e32 v3, v15, v14, vcc
	v_cmp_ne_u32_e32 vcc, 0, v3
	v_cndmask_b32_e64 v17, v21, v17, s[0:1]
	v_cndmask_b32_e64 v3, v20, v16, s[0:1]
	v_cndmask_b32_e32 v13, v13, v17, vcc
	v_cndmask_b32_e32 v12, v12, v3, vcc
                                        ; implicit-def: $vgpr14
.LBB11_14:                              ;   in Loop: Header=BB11_4 Depth=1
	s_andn2_saveexec_b64 s[0:1], s[2:3]
	s_cbranch_execz .LBB11_16
; %bb.15:                               ;   in Loop: Header=BB11_4 Depth=1
	v_cvt_f32_u32_e32 v3, s56
	s_sub_i32 s2, 0, s56
	v_rcp_iflag_f32_e32 v3, v3
	s_nop 0
	v_mul_f32_e32 v3, 0x4f7ffffe, v3
	v_cvt_u32_f32_e32 v3, v3
	v_mul_lo_u32 v12, s2, v3
	v_mul_hi_u32 v12, v3, v12
	v_add_u32_e32 v3, v3, v12
	v_mul_hi_u32 v3, v14, v3
	v_mul_lo_u32 v12, v3, s56
	v_sub_u32_e32 v12, v14, v12
	v_add_u32_e32 v13, 1, v3
	v_subrev_u32_e32 v14, s56, v12
	v_cmp_le_u32_e32 vcc, s56, v12
	s_nop 1
	v_cndmask_b32_e32 v12, v12, v14, vcc
	v_cndmask_b32_e32 v3, v3, v13, vcc
	v_add_u32_e32 v13, 1, v3
	v_cmp_le_u32_e32 vcc, s56, v12
	s_nop 1
	v_cndmask_b32_e32 v12, v3, v13, vcc
	v_mov_b32_e32 v13, v2
.LBB11_16:                              ;   in Loop: Header=BB11_4 Depth=1
	s_or_b64 exec, exec, s[0:1]
	v_mul_lo_u32 v3, v7, s9
	v_mul_lo_u32 v14, v6, s33
	v_mad_u64_u32 v[6:7], s[0:1], v6, s9, 0
	v_add3_u32 v3, v7, v14, v3
	v_sub_co_u32_e32 v19, vcc, v0, v6
	v_mul_lo_u32 v22, v19, s51
	s_nop 0
	v_subb_co_u32_e32 v3, vcc, v1, v3, vcc
	v_mul_lo_u32 v3, v3, s52
	v_mad_u64_u32 v[14:15], s[0:1], v19, s52, 0
	v_add3_u32 v15, v15, v22, v3
	v_mov_b32_e32 v7, s13
	v_subrev_co_u32_e32 v6, vcc, s12, v14
	s_nop 1
	v_subb_co_u32_e32 v7, vcc, v15, v7, vcc
	v_cmp_lt_i64_e32 vcc, 0, v[6:7]
	s_nop 1
	v_cndmask_b32_e32 v17, 0, v7, vcc
	v_cndmask_b32_e32 v16, 0, v6, vcc
	v_lshl_add_u64 v[16:17], v[16:17], 0, s[12:13]
	v_cmp_ne_u64_e32 vcc, v[16:17], v[14:15]
	v_mov_b32_e32 v15, s31
	s_nop 0
	v_cndmask_b32_e64 v14, 0, 1, vcc
	v_mad_u64_u32 v[20:21], s[0:1], v19, s52, v[14:15]
	v_add3_u32 v3, v3, v21, v22
	v_sub_co_u32_e32 v19, vcc, v16, v20
	s_nop 1
	v_subb_co_u32_e32 v20, vcc, v17, v3, vcc
	v_or_b32_e32 v3, s57, v20
	v_cmp_ne_u64_e32 vcc, 0, v[2:3]
                                        ; implicit-def: $vgpr16_vgpr17
	s_and_saveexec_b64 s[0:1], vcc
	s_xor_b64 s[2:3], exec, s[0:1]
	s_cbranch_execz .LBB11_18
; %bb.17:                               ;   in Loop: Header=BB11_4 Depth=1
	v_cvt_f32_u32_e32 v3, s58
	v_cvt_f32_u32_e32 v16, s57
	s_sub_u32 s4, 0, s58
	s_subb_u32 s5, 0, s57
	v_mov_b32_e32 v23, v2
	v_fmac_f32_e32 v3, 0x4f800000, v16
	v_rcp_f32_e32 v3, v3
	s_nop 0
	v_mul_f32_e32 v3, 0x5f7ffffc, v3
	v_mul_f32_e32 v16, 0x2f800000, v3
	v_trunc_f32_e32 v16, v16
	v_fmac_f32_e32 v3, 0xcf800000, v16
	v_cvt_u32_f32_e32 v16, v16
	v_cvt_u32_f32_e32 v3, v3
	v_readfirstlane_b32 s21, v16
	v_readfirstlane_b32 s0, v3
	s_mul_i32 s1, s4, s21
	s_mul_hi_u32 s41, s4, s0
	s_mul_i32 s40, s5, s0
	s_add_i32 s1, s41, s1
	s_mul_i32 s42, s4, s0
	s_add_i32 s1, s1, s40
	s_mul_i32 s41, s0, s1
	s_mul_hi_u32 s43, s0, s42
	s_mul_hi_u32 s40, s0, s1
	s_add_u32 s41, s43, s41
	s_addc_u32 s40, 0, s40
	s_mul_hi_u32 s44, s21, s42
	s_mul_i32 s42, s21, s42
	s_add_u32 s41, s41, s42
	s_mul_hi_u32 s43, s21, s1
	s_addc_u32 s40, s40, s44
	s_addc_u32 s41, s43, 0
	s_mul_i32 s1, s21, s1
	s_add_u32 s1, s40, s1
	s_addc_u32 s40, 0, s41
	s_add_u32 s41, s0, s1
	s_cselect_b64 s[0:1], -1, 0
	s_cmp_lg_u64 s[0:1], 0
	s_addc_u32 s21, s21, s40
	s_mul_i32 s0, s4, s21
	s_mul_hi_u32 s1, s4, s41
	s_add_i32 s0, s1, s0
	s_mul_i32 s5, s5, s41
	s_add_i32 s0, s0, s5
	s_mul_i32 s4, s4, s41
	s_mul_hi_u32 s5, s21, s4
	s_mul_i32 s40, s21, s4
	s_mul_i32 s43, s41, s0
	s_mul_hi_u32 s4, s41, s4
	s_mul_hi_u32 s42, s41, s0
	s_add_u32 s4, s4, s43
	s_addc_u32 s42, 0, s42
	s_add_u32 s4, s4, s40
	s_mul_hi_u32 s1, s21, s0
	s_addc_u32 s4, s42, s5
	s_addc_u32 s1, s1, 0
	s_mul_i32 s0, s21, s0
	s_add_u32 s0, s4, s0
	s_addc_u32 s4, 0, s1
	s_add_u32 s5, s41, s0
	s_cselect_b64 s[0:1], -1, 0
	s_cmp_lg_u64 s[0:1], 0
	s_addc_u32 s4, s21, s4
	v_mad_u64_u32 v[16:17], s[0:1], v19, s4, 0
	v_mul_hi_u32 v22, v19, s5
	v_lshl_add_u64 v[16:17], v[22:23], 0, v[16:17]
	v_mad_u64_u32 v[24:25], s[0:1], v20, s5, 0
	v_add_co_u32_e32 v3, vcc, v16, v24
	v_mad_u64_u32 v[22:23], s[0:1], v20, s4, 0
	s_nop 0
	v_addc_co_u32_e32 v16, vcc, v17, v25, vcc
	v_mov_b32_e32 v17, v2
	s_nop 0
	v_addc_co_u32_e32 v23, vcc, 0, v23, vcc
	v_lshl_add_u64 v[16:17], v[16:17], 0, v[22:23]
	v_mul_lo_u32 v3, s57, v16
	v_mul_lo_u32 v21, s58, v17
	v_mad_u64_u32 v[22:23], s[0:1], s58, v16, 0
	v_add3_u32 v3, v23, v21, v3
	v_sub_u32_e32 v21, v20, v3
	v_mov_b32_e32 v23, s57
	v_sub_co_u32_e32 v19, vcc, v19, v22
	v_lshl_add_u64 v[24:25], v[16:17], 0, 1
	s_nop 0
	v_subb_co_u32_e64 v21, s[0:1], v21, v23, vcc
	v_subrev_co_u32_e64 v22, s[0:1], s58, v19
	v_subb_co_u32_e32 v3, vcc, v20, v3, vcc
	s_nop 0
	v_subbrev_co_u32_e64 v21, s[0:1], 0, v21, s[0:1]
	v_cmp_le_u32_e64 s[0:1], s57, v21
	v_cmp_le_u32_e32 vcc, s57, v3
	s_nop 0
	v_cndmask_b32_e64 v23, 0, -1, s[0:1]
	v_cmp_le_u32_e64 s[0:1], s58, v22
	v_cndmask_b32_e64 v20, 0, -1, vcc
	v_cmp_le_u32_e32 vcc, s58, v19
	v_cndmask_b32_e64 v22, 0, -1, s[0:1]
	v_cmp_eq_u32_e64 s[0:1], s57, v21
	v_cndmask_b32_e64 v19, 0, -1, vcc
	v_cmp_eq_u32_e32 vcc, s57, v3
	v_cndmask_b32_e64 v21, v23, v22, s[0:1]
	v_lshl_add_u64 v[22:23], v[16:17], 0, 2
	v_cmp_ne_u32_e64 s[0:1], 0, v21
	v_cndmask_b32_e32 v3, v20, v19, vcc
	v_cmp_ne_u32_e32 vcc, 0, v3
	v_cndmask_b32_e64 v21, v25, v23, s[0:1]
	v_cndmask_b32_e64 v3, v24, v22, s[0:1]
	v_cndmask_b32_e32 v17, v17, v21, vcc
	v_cndmask_b32_e32 v16, v16, v3, vcc
                                        ; implicit-def: $vgpr19
.LBB11_18:                              ;   in Loop: Header=BB11_4 Depth=1
	s_andn2_saveexec_b64 s[0:1], s[2:3]
	s_cbranch_execz .LBB11_20
; %bb.19:                               ;   in Loop: Header=BB11_4 Depth=1
	v_cvt_f32_u32_e32 v3, s58
	s_sub_i32 s2, 0, s58
	v_rcp_iflag_f32_e32 v3, v3
	s_nop 0
	v_mul_f32_e32 v3, 0x4f7ffffe, v3
	v_cvt_u32_f32_e32 v3, v3
	v_mul_lo_u32 v16, s2, v3
	v_mul_hi_u32 v16, v3, v16
	v_add_u32_e32 v3, v3, v16
	v_mul_hi_u32 v3, v19, v3
	v_mul_lo_u32 v16, v3, s58
	v_sub_u32_e32 v16, v19, v16
	v_add_u32_e32 v17, 1, v3
	v_subrev_u32_e32 v19, s58, v16
	v_cmp_le_u32_e32 vcc, s58, v16
	s_nop 1
	v_cndmask_b32_e32 v16, v16, v19, vcc
	v_cndmask_b32_e32 v3, v3, v17, vcc
	v_add_u32_e32 v17, 1, v3
	v_cmp_le_u32_e32 vcc, s58, v16
	s_nop 1
	v_cndmask_b32_e32 v16, v3, v17, vcc
	v_mov_b32_e32 v17, v2
.LBB11_20:                              ;   in Loop: Header=BB11_4 Depth=1
	s_or_b64 exec, exec, s[0:1]
	v_lshl_add_u64 v[10:11], v[12:13], 0, v[10:11]
	v_mul_lo_u32 v3, v10, s11
	v_mul_lo_u32 v12, v11, s10
	v_mad_u64_u32 v[10:11], s[0:1], v10, s10, v[8:9]
	v_add3_u32 v3, v12, v11, v3
	v_add_u32_e32 v11, s53, v8
	v_lshl_add_u64 v[8:9], v[16:17], 0, v[14:15]
	v_mul_lo_u32 v14, v8, s15
	v_mul_lo_u32 v9, v9, s14
	v_mad_u64_u32 v[12:13], s[0:1], v8, s14, v[6:7]
	v_add3_u32 v13, v9, v13, v14
	v_min_i32_e32 v11, s20, v11
	v_mul_lo_u32 v3, v3, s22
	v_mad_u64_u32 v[8:9], s[0:1], v10, s22, v[12:13]
	v_mul_lo_u32 v7, v10, s23
	v_add3_u32 v9, v3, v9, v7
	v_cmp_gt_i32_e32 vcc, v11, v10
	v_mov_b32_e32 v16, 0xfffffc00
	s_and_saveexec_b64 s[40:41], vcc
	s_cbranch_execz .LBB11_3
; %bb.21:                               ;   in Loop: Header=BB11_4 Depth=1
	v_add_u32_e32 v3, s54, v6
	v_mov_b64_e32 v[6:7], s[18:19]
	v_min_i32_e32 v17, s22, v3
	v_mad_u64_u32 v[6:7], s[0:1], s34, v4, v[6:7]
	v_mul_lo_u32 v5, s34, v5
	v_mul_lo_u32 v4, s35, v4
	v_ashrrev_i32_e32 v3, 31, v10
	v_cmp_gt_i32_e32 vcc, v17, v12
	v_add3_u32 v7, v4, v7, v5
	v_mov_b32_e32 v16, 0xfffffc00
	s_mov_b64 s[42:43], 0
	s_branch .LBB11_23
.LBB11_22:                              ;   in Loop: Header=BB11_23 Depth=2
	s_or_b64 exec, exec, s[44:45]
	v_add_u32_e32 v10, s6, v10
	v_cmp_ge_i32_e64 s[0:1], v10, v11
	s_or_b64 s[42:43], s[0:1], s[42:43]
	v_ashrrev_i32_e32 v3, 31, v10
	s_andn2_b64 exec, exec, s[42:43]
	s_cbranch_execz .LBB11_2
.LBB11_23:                              ;   Parent Loop BB11_4 Depth=1
                                        ; =>  This Loop Header: Depth=2
                                        ;       Child Loop BB11_25 Depth 3
	s_and_saveexec_b64 s[44:45], vcc
	s_cbranch_execz .LBB11_22
; %bb.24:                               ;   in Loop: Header=BB11_23 Depth=2
	v_ashrrev_i32_e32 v13, 31, v12
	v_mul_lo_u32 v14, v10, s23
	v_mul_lo_u32 v3, v3, s22
	v_mad_u64_u32 v[4:5], s[0:1], v10, s22, v[12:13]
	v_add3_u32 v5, v3, v5, v14
	v_lshl_add_u64 v[14:15], v[4:5], 1, v[6:7]
	s_mov_b64 s[46:47], 0
	v_mov_b32_e32 v3, v12
.LBB11_25:                              ;   Parent Loop BB11_4 Depth=1
                                        ;     Parent Loop BB11_23 Depth=2
                                        ; =>    This Inner Loop Header: Depth=3
	global_load_ushort v13, v[14:15], off
	v_add_u32_e32 v3, s7, v3
	v_cmp_ge_i32_e64 s[0:1], v3, v17
	v_lshl_add_u64 v[14:15], v[14:15], 0, s[36:37]
	s_waitcnt vmcnt(0)
	v_cmp_gt_f16_e64 s[2:3], v13, v16
	v_cmp_u_f16_e64 s[4:5], v13, v13
	s_or_b64 s[2:3], s[2:3], s[4:5]
	v_cndmask_b32_e64 v16, v16, v13, s[2:3]
	v_cndmask_b32_e64 v9, v9, v5, s[2:3]
	;; [unrolled: 1-line block ×3, first 2 shown]
	s_or_b64 s[46:47], s[0:1], s[46:47]
	v_lshl_add_u64 v[4:5], v[4:5], 0, s[14:15]
	s_andn2_b64 exec, exec, s[46:47]
	s_cbranch_execnz .LBB11_25
; %bb.26:                               ;   in Loop: Header=BB11_23 Depth=2
	s_or_b64 exec, exec, s[46:47]
	s_branch .LBB11_22
.LBB11_27:
	s_endpgm
	.section	.rodata,"a",@progbits
	.p2align	6, 0x0
	.amdhsa_kernel _ZN2at6native12_GLOBAL__N_121max_pool_forward_nchwIN3c104HalfElEEvT0_PKT_llliiiiiiiiiiPS6_Pl
		.amdhsa_group_segment_fixed_size 0
		.amdhsa_private_segment_fixed_size 0
		.amdhsa_kernarg_size 352
		.amdhsa_user_sgpr_count 2
		.amdhsa_user_sgpr_dispatch_ptr 0
		.amdhsa_user_sgpr_queue_ptr 0
		.amdhsa_user_sgpr_kernarg_segment_ptr 1
		.amdhsa_user_sgpr_dispatch_id 0
		.amdhsa_user_sgpr_kernarg_preload_length 0
		.amdhsa_user_sgpr_kernarg_preload_offset 0
		.amdhsa_user_sgpr_private_segment_size 0
		.amdhsa_uses_dynamic_stack 0
		.amdhsa_enable_private_segment 0
		.amdhsa_system_sgpr_workgroup_id_x 1
		.amdhsa_system_sgpr_workgroup_id_y 0
		.amdhsa_system_sgpr_workgroup_id_z 0
		.amdhsa_system_sgpr_workgroup_info 0
		.amdhsa_system_vgpr_workitem_id 0
		.amdhsa_next_free_vgpr 26
		.amdhsa_next_free_sgpr 59
		.amdhsa_accum_offset 28
		.amdhsa_reserve_vcc 1
		.amdhsa_float_round_mode_32 0
		.amdhsa_float_round_mode_16_64 0
		.amdhsa_float_denorm_mode_32 3
		.amdhsa_float_denorm_mode_16_64 3
		.amdhsa_dx10_clamp 1
		.amdhsa_ieee_mode 1
		.amdhsa_fp16_overflow 0
		.amdhsa_tg_split 0
		.amdhsa_exception_fp_ieee_invalid_op 0
		.amdhsa_exception_fp_denorm_src 0
		.amdhsa_exception_fp_ieee_div_zero 0
		.amdhsa_exception_fp_ieee_overflow 0
		.amdhsa_exception_fp_ieee_underflow 0
		.amdhsa_exception_fp_ieee_inexact 0
		.amdhsa_exception_int_div_zero 0
	.end_amdhsa_kernel
	.section	.text._ZN2at6native12_GLOBAL__N_121max_pool_forward_nchwIN3c104HalfElEEvT0_PKT_llliiiiiiiiiiPS6_Pl,"axG",@progbits,_ZN2at6native12_GLOBAL__N_121max_pool_forward_nchwIN3c104HalfElEEvT0_PKT_llliiiiiiiiiiPS6_Pl,comdat
.Lfunc_end11:
	.size	_ZN2at6native12_GLOBAL__N_121max_pool_forward_nchwIN3c104HalfElEEvT0_PKT_llliiiiiiiiiiPS6_Pl, .Lfunc_end11-_ZN2at6native12_GLOBAL__N_121max_pool_forward_nchwIN3c104HalfElEEvT0_PKT_llliiiiiiiiiiPS6_Pl
                                        ; -- End function
	.set _ZN2at6native12_GLOBAL__N_121max_pool_forward_nchwIN3c104HalfElEEvT0_PKT_llliiiiiiiiiiPS6_Pl.num_vgpr, 26
	.set _ZN2at6native12_GLOBAL__N_121max_pool_forward_nchwIN3c104HalfElEEvT0_PKT_llliiiiiiiiiiPS6_Pl.num_agpr, 0
	.set _ZN2at6native12_GLOBAL__N_121max_pool_forward_nchwIN3c104HalfElEEvT0_PKT_llliiiiiiiiiiPS6_Pl.numbered_sgpr, 59
	.set _ZN2at6native12_GLOBAL__N_121max_pool_forward_nchwIN3c104HalfElEEvT0_PKT_llliiiiiiiiiiPS6_Pl.num_named_barrier, 0
	.set _ZN2at6native12_GLOBAL__N_121max_pool_forward_nchwIN3c104HalfElEEvT0_PKT_llliiiiiiiiiiPS6_Pl.private_seg_size, 0
	.set _ZN2at6native12_GLOBAL__N_121max_pool_forward_nchwIN3c104HalfElEEvT0_PKT_llliiiiiiiiiiPS6_Pl.uses_vcc, 1
	.set _ZN2at6native12_GLOBAL__N_121max_pool_forward_nchwIN3c104HalfElEEvT0_PKT_llliiiiiiiiiiPS6_Pl.uses_flat_scratch, 0
	.set _ZN2at6native12_GLOBAL__N_121max_pool_forward_nchwIN3c104HalfElEEvT0_PKT_llliiiiiiiiiiPS6_Pl.has_dyn_sized_stack, 0
	.set _ZN2at6native12_GLOBAL__N_121max_pool_forward_nchwIN3c104HalfElEEvT0_PKT_llliiiiiiiiiiPS6_Pl.has_recursion, 0
	.set _ZN2at6native12_GLOBAL__N_121max_pool_forward_nchwIN3c104HalfElEEvT0_PKT_llliiiiiiiiiiPS6_Pl.has_indirect_call, 0
	.section	.AMDGPU.csdata,"",@progbits
; Kernel info:
; codeLenInByte = 4080
; TotalNumSgprs: 65
; NumVgprs: 26
; NumAgprs: 0
; TotalNumVgprs: 26
; ScratchSize: 0
; MemoryBound: 0
; FloatMode: 240
; IeeeMode: 1
; LDSByteSize: 0 bytes/workgroup (compile time only)
; SGPRBlocks: 8
; VGPRBlocks: 3
; NumSGPRsForWavesPerEU: 65
; NumVGPRsForWavesPerEU: 26
; AccumOffset: 28
; Occupancy: 8
; WaveLimiterHint : 0
; COMPUTE_PGM_RSRC2:SCRATCH_EN: 0
; COMPUTE_PGM_RSRC2:USER_SGPR: 2
; COMPUTE_PGM_RSRC2:TRAP_HANDLER: 0
; COMPUTE_PGM_RSRC2:TGID_X_EN: 1
; COMPUTE_PGM_RSRC2:TGID_Y_EN: 0
; COMPUTE_PGM_RSRC2:TGID_Z_EN: 0
; COMPUTE_PGM_RSRC2:TIDIG_COMP_CNT: 0
; COMPUTE_PGM_RSRC3_GFX90A:ACCUM_OFFSET: 6
; COMPUTE_PGM_RSRC3_GFX90A:TG_SPLIT: 0
	.section	.text._ZN2at6native12_GLOBAL__N_121max_pool_forward_nhwcIN3c108BFloat16EiEEvPKT_iT0_S8_S8_S8_S8_iiiiiiiiS8_S8_S8_S8_iiPS5_Pl,"axG",@progbits,_ZN2at6native12_GLOBAL__N_121max_pool_forward_nhwcIN3c108BFloat16EiEEvPKT_iT0_S8_S8_S8_S8_iiiiiiiiS8_S8_S8_S8_iiPS5_Pl,comdat
	.globl	_ZN2at6native12_GLOBAL__N_121max_pool_forward_nhwcIN3c108BFloat16EiEEvPKT_iT0_S8_S8_S8_S8_iiiiiiiiS8_S8_S8_S8_iiPS5_Pl ; -- Begin function _ZN2at6native12_GLOBAL__N_121max_pool_forward_nhwcIN3c108BFloat16EiEEvPKT_iT0_S8_S8_S8_S8_iiiiiiiiS8_S8_S8_S8_iiPS5_Pl
	.p2align	8
	.type	_ZN2at6native12_GLOBAL__N_121max_pool_forward_nhwcIN3c108BFloat16EiEEvPKT_iT0_S8_S8_S8_S8_iiiiiiiiS8_S8_S8_S8_iiPS5_Pl,@function
_ZN2at6native12_GLOBAL__N_121max_pool_forward_nhwcIN3c108BFloat16EiEEvPKT_iT0_S8_S8_S8_S8_iiiiiiiiS8_S8_S8_S8_iiPS5_Pl: ; @_ZN2at6native12_GLOBAL__N_121max_pool_forward_nhwcIN3c108BFloat16EiEEvPKT_iT0_S8_S8_S8_S8_iiiiiiiiS8_S8_S8_S8_iiPS5_Pl
; %bb.0:
	s_load_dwordx4 s[8:11], s[0:1], 0x6c
	s_load_dwordx4 s[28:31], s[0:1], 0x48
	v_bfe_u32 v2, v0, 10, 10
	v_bfe_u32 v3, v0, 20, 10
	v_and_b32_e32 v8, 0x3ff, v0
	s_waitcnt lgkmcnt(0)
	s_and_b32 s36, s10, 0xffff
	s_lshr_b32 s56, s10, 16
	s_mul_i32 s37, s31, s36
	s_and_b32 s33, s11, 0xffff
	s_mul_i32 s5, s37, s56
	v_mad_u32_u24 v9, v3, s56, v2
	s_mul_i32 s5, s5, s33
	v_mad_u64_u32 v[0:1], s[6:7], v9, s36, v[8:9]
	v_cmp_gt_u32_e32 vcc, s5, v0
	s_and_saveexec_b64 s[6:7], vcc
	s_cbranch_execz .LBB12_3
; %bb.1:
	s_mul_i32 s12, s56, s36
	s_lshl_b32 s10, s5, 2
	s_mul_i32 s12, s12, s33
	s_add_i32 s10, s10, 0
	v_lshl_add_u32 v1, v0, 1, s10
	s_lshl_b32 s13, s12, 1
	v_lshl_add_u32 v4, v0, 2, 0
	s_lshl_b32 s14, s12, 2
	s_mov_b64 s[10:11], 0
	v_mov_b32_e32 v5, 0xffffff80
	v_mov_b32_e32 v6, 0
.LBB12_2:                               ; =>This Inner Loop Header: Depth=1
	v_add_u32_e32 v0, s12, v0
	v_cmp_le_u32_e32 vcc, s5, v0
	ds_write_b16 v1, v5
	ds_write_b32 v4, v6
	v_add_u32_e32 v1, s13, v1
	s_or_b64 s[10:11], vcc, s[10:11]
	v_add_u32_e32 v4, s14, v4
	s_andn2_b64 exec, exec, s[10:11]
	s_cbranch_execnz .LBB12_2
.LBB12_3:
	s_or_b64 exec, exec, s[6:7]
	v_cvt_f32_u32_e32 v0, s9
	s_load_dwordx16 s[12:27], s[0:1], 0x8
	s_sub_i32 s6, 0, s9
	s_waitcnt lgkmcnt(0)
	v_rcp_iflag_f32_e32 v0, v0
	s_barrier
	s_add_i32 s7, s16, s9
	s_add_i32 s7, s7, -1
	v_mul_f32_e32 v0, 0x4f7ffffe, v0
	v_cvt_u32_f32_e32 v0, v0
	v_cvt_f32_u32_e32 v1, s12
	v_readfirstlane_b32 s10, v0
	s_mul_i32 s6, s6, s10
	s_mul_hi_u32 s11, s10, s6
	v_cvt_f32_u32_e32 v0, s8
	s_add_i32 s10, s10, s11
	s_mul_hi_u32 s10, s7, s10
	s_mul_i32 s11, s10, s9
	s_sub_i32 s7, s7, s11
	v_rcp_iflag_f32_e32 v0, v0
	s_add_i32 s11, s10, 1
	s_sub_i32 s34, s7, s9
	v_rcp_iflag_f32_e32 v1, v1
	s_cmp_ge_u32 s7, s9
	s_cselect_b32 s10, s11, s10
	s_cselect_b32 s7, s34, s7
	v_mul_f32_e32 v0, 0x4f7ffffe, v0
	s_add_i32 s11, s10, 1
	v_cvt_u32_f32_e32 v0, v0
	s_cmp_ge_u32 s7, s9
	v_mul_f32_e32 v1, 0x4f7ffffe, v1
	s_cselect_b32 s9, s11, s10
	v_cvt_u32_f32_e32 v1, v1
	s_mul_i32 s4, s9, s4
	v_add_u32_e32 v3, s4, v3
	v_readfirstlane_b32 s7, v0
	v_add_u32_e32 v0, s9, v3
	v_min_i32_e32 v24, s16, v0
	v_readfirstlane_b32 s6, v1
	v_cmp_lt_i32_e32 vcc, v3, v24
	s_and_saveexec_b64 s[10:11], vcc
	s_cbranch_execz .LBB12_74
; %bb.4:
	s_sub_i32 s4, 0, s12
	s_mul_i32 s4, s4, s6
	s_mul_hi_u32 s4, s6, s4
	s_add_i32 s6, s6, s4
	s_mul_hi_u32 s4, s2, s6
	s_add_i32 s6, s17, s8
	s_add_i32 s9, s6, -1
	s_sub_i32 s6, 0, s8
	s_mul_i32 s6, s6, s7
	s_lshl_b32 s5, s5, 2
	s_mul_hi_u32 s6, s7, s6
	s_add_i32 s41, s5, 0
	s_mul_i32 s5, s4, s12
	s_add_i32 s7, s7, s6
	s_sub_i32 s5, s2, s5
	s_mul_hi_u32 s40, s9, s7
	s_add_i32 s6, s4, 1
	s_sub_i32 s7, s5, s12
	s_cmp_ge_u32 s5, s12
	s_cselect_b32 s4, s6, s4
	s_cselect_b32 s5, s7, s5
	s_add_i32 s6, s4, 1
	s_cmp_ge_u32 s5, s12
	s_cselect_b32 s4, s6, s4
	s_mul_i32 s5, s4, s12
	s_mul_i32 s4, s4, s36
	s_load_dwordx2 s[10:11], s[0:1], 0x0
	v_add_u32_e32 v0, s4, v8
	s_mul_i32 s4, s16, s13
	s_sub_i32 s2, s2, s5
	s_mul_i32 s4, s4, s17
	s_mul_i32 s34, s4, s2
	;; [unrolled: 1-line block ×3, first 2 shown]
	s_ashr_i32 s5, s4, 31
	s_ashr_i32 s35, s34, 31
	s_lshl_b64 s[38:39], s[4:5], 1
	s_load_dwordx4 s[4:7], s[0:1], 0x58
	s_waitcnt lgkmcnt(0)
	s_add_u32 s10, s10, s38
	s_mul_i32 s0, s40, s8
	s_addc_u32 s11, s11, s39
	s_sub_i32 s0, s9, s0
	s_add_i32 s1, s40, 1
	s_sub_i32 s2, s0, s8
	s_cmp_ge_u32 s0, s8
	s_cselect_b32 s1, s1, s40
	s_cselect_b32 s0, s2, s0
	s_add_i32 s2, s1, 1
	s_cmp_ge_u32 s0, s8
	s_cselect_b32 s0, s2, s1
	s_mul_i32 s1, s0, s3
	v_add_u32_e32 v2, s1, v2
	v_add_u32_e32 v4, s0, v2
	s_add_i32 s0, s18, -1
	s_add_i32 s2, s19, -1
	s_mul_i32 s12, s24, s0
	s_mul_i32 s57, s25, s2
	s_add_i32 s12, s12, 1
	s_add_i32 s57, s57, 1
	s_max_i32 s2, s18, s19
	s_cmp_lt_i32 s2, 4
	s_mul_i32 s16, s30, s36
	s_cselect_b64 s[2:3], -1, 0
	s_cmp_le_u32 s13, s16
	s_cselect_b64 s[8:9], -1, 0
	s_max_u32 s58, s24, 1
	v_cvt_f32_u32_e32 v11, s58
	v_mul_lo_u32 v1, s37, v9
	v_min_i32_e32 v25, s17, v4
	v_mul_lo_u32 v4, v0, s27
	v_rcp_iflag_f32_e32 v11, v11
	v_lshlrev_b32_e32 v10, 1, v1
	v_ashrrev_i32_e32 v5, 31, v4
	v_lshlrev_b32_e32 v12, 1, v8
	v_lshl_add_u64 v[6:7], v[4:5], 1, s[10:11]
	v_add3_u32 v5, s41, v10, v12
	v_mul_f32_e32 v10, 0x4f7ffffe, v11
	v_cvt_u32_f32_e32 v10, v10
	v_lshlrev_b32_e32 v1, 2, v1
	s_and_b64 s[18:19], s[2:3], s[8:9]
	v_lshlrev_b32_e32 v8, 2, v8
	s_sub_i32 s8, 0, s58
	v_add3_u32 v26, 0, v1, v8
	v_mul_lo_u32 v1, s8, v10
	v_mul_hi_u32 v1, v10, v1
	v_add_u32_e32 v27, v10, v1
	s_mul_i32 s8, s56, s33
	v_lshlrev_b32_e32 v1, 1, v9
	v_lshl_add_u32 v1, s8, 2, v1
	v_mul_lo_u32 v1, s31, v1
	v_mul_lo_u32 v1, v1, s36
	v_add3_u32 v29, v1, v12, 0
	v_mul_lo_u32 v1, s31, v9
	s_lshl_b32 s59, s25, 1
	s_lshl_b32 s61, s36, 1
	v_mul_lo_u32 v1, v1, s36
	s_lshl_b32 s62, s36, 2
	s_lshl_b64 s[8:9], s[34:35], 1
	v_lshlrev_b32_e32 v1, 2, v1
	s_add_u32 s4, s4, s8
	v_add3_u32 v30, v1, v8, 0
	v_ashrrev_i32_e32 v1, 31, v0
	s_addc_u32 s5, s5, s9
	v_lshl_add_u64 v[8:9], v[0:1], 1, s[4:5]
	v_mad_u64_u32 v[10:11], s[4:5], s17, v3, v[2:3]
	s_mul_i32 s63, s17, s13
	s_ashr_i32 s17, s16, 31
	s_mul_i32 s60, s16, s27
	s_lshl_b64 s[26:27], s[16:17], 1
	s_lshl_b64 s[4:5], s[34:35], 3
	s_add_u32 s4, s6, s4
	s_addc_u32 s5, s7, s5
	v_cmp_lt_i32_e64 s[0:1], v2, v25
	v_cmp_gt_i32_e64 s[2:3], s13, v0
	v_mov_b32_e32 v28, 0
	v_mul_lo_u32 v31, s13, v10
	s_mul_i32 s63, s63, s33
	s_mul_i32 s64, s13, s56
	v_lshl_add_u64 v[10:11], v[0:1], 3, s[4:5]
	s_lshl_b64 s[30:31], s[16:17], 3
	s_mov_b64 s[34:35], 0
	v_mov_b32_e32 v1, 0xffffff80
	s_branch .LBB12_6
.LBB12_5:                               ;   in Loop: Header=BB12_6 Depth=1
	s_or_b64 exec, exec, s[36:37]
	v_add_u32_e32 v3, s33, v3
	v_cmp_ge_i32_e32 vcc, v3, v24
	s_or_b64 s[34:35], vcc, s[34:35]
	v_add_u32_e32 v31, s63, v31
	s_andn2_b64 exec, exec, s[34:35]
	s_cbranch_execz .LBB12_74
.LBB12_6:                               ; =>This Loop Header: Depth=1
                                        ;     Child Loop BB12_9 Depth 2
                                        ;       Child Loop BB12_10 Depth 3
                                        ;       Child Loop BB12_63 Depth 3
                                        ;         Child Loop BB12_66 Depth 4
                                        ;           Child Loop BB12_69 Depth 5
                                        ;       Child Loop BB12_73 Depth 3
	s_and_saveexec_b64 s[36:37], s[0:1]
	s_cbranch_execz .LBB12_5
; %bb.7:                                ;   in Loop: Header=BB12_6 Depth=1
	v_mul_lo_u32 v12, v3, s20
	v_subrev_u32_e32 v12, s22, v12
	v_add_u32_e32 v13, s12, v12
	v_min_i32_e32 v32, s14, v13
	s_mov_b64 s[38:39], 0
	v_mov_b32_e32 v14, v31
	v_mov_b32_e32 v33, v2
	s_branch .LBB12_9
.LBB12_8:                               ;   in Loop: Header=BB12_9 Depth=2
	s_or_b64 exec, exec, s[4:5]
	v_add_u32_e32 v33, s56, v33
	v_cmp_ge_i32_e32 vcc, v33, v25
	s_or_b64 s[38:39], vcc, s[38:39]
	v_add_u32_e32 v14, s64, v14
	s_andn2_b64 exec, exec, s[38:39]
	s_cbranch_execz .LBB12_5
.LBB12_9:                               ;   Parent Loop BB12_6 Depth=1
                                        ; =>  This Loop Header: Depth=2
                                        ;       Child Loop BB12_10 Depth 3
                                        ;       Child Loop BB12_63 Depth 3
                                        ;         Child Loop BB12_66 Depth 4
                                        ;           Child Loop BB12_69 Depth 5
                                        ;       Child Loop BB12_73 Depth 3
	v_mul_lo_u32 v13, v33, s21
	v_subrev_u32_e32 v13, s23, v13
	s_mov_b64 s[4:5], 0
	v_mov_b32_e32 v35, v13
.LBB12_10:                              ;   Parent Loop BB12_6 Depth=1
                                        ;     Parent Loop BB12_9 Depth=2
                                        ; =>    This Inner Loop Header: Depth=3
	v_mov_b32_e32 v15, v35
	v_cmp_lt_i32_e32 vcc, -1, v15
	s_or_b64 s[4:5], vcc, s[4:5]
	v_add_u32_e32 v35, s25, v15
	s_andn2_b64 exec, exec, s[4:5]
	s_cbranch_execnz .LBB12_10
; %bb.11:                               ;   in Loop: Header=BB12_9 Depth=2
	s_or_b64 exec, exec, s[4:5]
	v_lshrrev_b32_e32 v17, 31, v12
	s_waitcnt vmcnt(0)
	v_max_i32_e32 v16, 0, v12
	v_add_u32_e32 v18, v12, v17
	v_sub_u32_e32 v16, v16, v18
	v_mul_hi_u32 v18, v16, v27
	v_mul_lo_u32 v19, v18, s58
	v_sub_u32_e32 v16, v16, v19
	v_add_u32_e32 v19, 1, v18
	v_cmp_le_u32_e32 vcc, s58, v16
	v_add_u32_e32 v13, s57, v13
	v_min_i32_e32 v34, s15, v13
	v_cndmask_b32_e32 v18, v18, v19, vcc
	v_subrev_u32_e32 v19, s58, v16
	v_cndmask_b32_e32 v16, v16, v19, vcc
	v_add_u32_e32 v19, 1, v18
	v_cmp_le_u32_e32 vcc, s58, v16
	s_nop 1
	v_cndmask_b32_e32 v16, v18, v19, vcc
	v_add_u32_e32 v16, v17, v16
	v_mad_u64_u32 v[12:13], s[4:5], s24, v16, v[12:13]
	s_mov_b64 s[4:5], -1
	s_and_b64 vcc, exec, s[18:19]
	v_cmp_lt_i32_e64 s[8:9], v12, v32
	s_cbranch_vccnz .LBB12_14
; %bb.12:                               ;   in Loop: Header=BB12_9 Depth=2
	s_and_b64 vcc, exec, s[4:5]
	s_cbranch_vccnz .LBB12_60
.LBB12_13:                              ;   in Loop: Header=BB12_9 Depth=2
	s_and_saveexec_b64 s[4:5], s[2:3]
	s_cbranch_execz .LBB12_8
	s_branch .LBB12_72
.LBB12_14:                              ;   in Loop: Header=BB12_9 Depth=2
	v_mul_lo_u32 v16, v12, s28
	v_ashrrev_i32_e32 v17, 31, v16
	v_cmp_lt_i32_e32 vcc, v15, v34
	v_lshl_add_u64 v[22:23], v[16:17], 1, v[6:7]
	s_and_b64 s[4:5], s[8:9], vcc
	v_mul_lo_u32 v16, v15, s29
	s_and_b64 s[54:55], s[2:3], s[4:5]
	v_mov_b32_e32 v39, 0
	v_ashrrev_i32_e32 v17, 31, v16
	v_mov_b32_e32 v44, 0
	s_and_saveexec_b64 s[4:5], s[54:55]
	s_cbranch_execz .LBB12_16
; %bb.15:                               ;   in Loop: Header=BB12_9 Depth=2
	v_lshl_add_u64 v[18:19], v[16:17], 1, v[22:23]
	global_load_ushort v44, v[18:19], off
.LBB12_16:                              ;   in Loop: Header=BB12_9 Depth=2
	s_or_b64 exec, exec, s[4:5]
	v_cmp_lt_i32_e64 s[4:5], v35, v34
	s_and_b64 s[6:7], s[8:9], s[4:5]
	v_mul_lo_u32 v18, v35, s29
	s_and_b64 s[52:53], s[2:3], s[6:7]
	v_ashrrev_i32_e32 v19, 31, v18
	s_and_saveexec_b64 s[6:7], s[52:53]
	s_cbranch_execz .LBB12_18
; %bb.17:                               ;   in Loop: Header=BB12_9 Depth=2
	v_lshl_add_u64 v[20:21], v[18:19], 1, v[22:23]
	global_load_ushort v39, v[20:21], off
.LBB12_18:                              ;   in Loop: Header=BB12_9 Depth=2
	s_or_b64 exec, exec, s[6:7]
	v_add_u32_e32 v13, s59, v15
	v_cmp_lt_i32_e64 s[6:7], v13, v34
	s_and_b64 s[8:9], s[8:9], s[6:7]
	v_mul_lo_u32 v20, v13, s29
	s_and_b64 s[48:49], s[2:3], s[8:9]
	v_mov_b32_e32 v38, 0
	v_ashrrev_i32_e32 v21, 31, v20
	v_mov_b32_e32 v43, 0
	s_and_saveexec_b64 s[8:9], s[48:49]
	s_cbranch_execz .LBB12_20
; %bb.19:                               ;   in Loop: Header=BB12_9 Depth=2
	v_lshl_add_u64 v[22:23], v[20:21], 1, v[22:23]
	global_load_ushort v43, v[22:23], off
.LBB12_20:                              ;   in Loop: Header=BB12_9 Depth=2
	s_or_b64 exec, exec, s[8:9]
	v_add_u32_e32 v45, s24, v12
	v_mul_lo_u32 v22, v45, s28
	v_cmp_lt_i32_e64 s[8:9], v45, v32
	v_ashrrev_i32_e32 v23, 31, v22
	s_and_b64 s[40:41], s[8:9], vcc
	v_lshl_add_u64 v[22:23], v[22:23], 1, v[6:7]
	s_and_b64 s[50:51], s[2:3], s[40:41]
	s_and_saveexec_b64 s[40:41], s[50:51]
	s_cbranch_execz .LBB12_22
; %bb.21:                               ;   in Loop: Header=BB12_9 Depth=2
	v_lshl_add_u64 v[36:37], v[16:17], 1, v[22:23]
	global_load_ushort v38, v[36:37], off
.LBB12_22:                              ;   in Loop: Header=BB12_9 Depth=2
	s_or_b64 exec, exec, s[40:41]
	s_and_b64 s[40:41], s[8:9], s[4:5]
	s_and_b64 s[46:47], s[2:3], s[40:41]
	v_mov_b32_e32 v37, 0
	v_mov_b32_e32 v42, 0
	s_and_saveexec_b64 s[40:41], s[46:47]
	s_cbranch_execz .LBB12_24
; %bb.23:                               ;   in Loop: Header=BB12_9 Depth=2
	v_lshl_add_u64 v[40:41], v[18:19], 1, v[22:23]
	global_load_ushort v42, v[40:41], off
.LBB12_24:                              ;   in Loop: Header=BB12_9 Depth=2
	s_or_b64 exec, exec, s[40:41]
	s_and_b64 s[8:9], s[8:9], s[6:7]
	s_and_b64 s[44:45], s[2:3], s[8:9]
	s_and_saveexec_b64 s[8:9], s[44:45]
	s_cbranch_execz .LBB12_26
; %bb.25:                               ;   in Loop: Header=BB12_9 Depth=2
	v_lshl_add_u64 v[22:23], v[20:21], 1, v[22:23]
	global_load_ushort v37, v[22:23], off
.LBB12_26:                              ;   in Loop: Header=BB12_9 Depth=2
	s_or_b64 exec, exec, s[8:9]
	v_add_u32_e32 v41, s24, v45
	v_mul_lo_u32 v22, v41, s28
	v_cmp_lt_i32_e64 s[8:9], v41, v32
	v_ashrrev_i32_e32 v23, 31, v22
	s_and_b64 s[40:41], s[8:9], vcc
	v_lshl_add_u64 v[22:23], v[22:23], 1, v[6:7]
	s_and_b64 s[42:43], s[2:3], s[40:41]
	v_mov_b32_e32 v36, 0
	v_mov_b32_e32 v40, 0
	s_and_saveexec_b64 s[40:41], s[42:43]
	s_cbranch_execz .LBB12_28
; %bb.27:                               ;   in Loop: Header=BB12_9 Depth=2
	v_lshl_add_u64 v[16:17], v[16:17], 1, v[22:23]
	global_load_ushort v40, v[16:17], off
.LBB12_28:                              ;   in Loop: Header=BB12_9 Depth=2
	s_or_b64 exec, exec, s[40:41]
	s_and_b64 s[4:5], s[8:9], s[4:5]
	s_and_b64 s[40:41], s[2:3], s[4:5]
	s_and_saveexec_b64 s[4:5], s[40:41]
	s_cbranch_execz .LBB12_30
; %bb.29:                               ;   in Loop: Header=BB12_9 Depth=2
	v_lshl_add_u64 v[16:17], v[18:19], 1, v[22:23]
	global_load_ushort v36, v[16:17], off
.LBB12_30:                              ;   in Loop: Header=BB12_9 Depth=2
	s_or_b64 exec, exec, s[4:5]
	s_and_b64 s[4:5], s[8:9], s[6:7]
	s_and_b64 s[6:7], s[2:3], s[4:5]
	v_mov_b32_e32 v16, 0
	s_and_saveexec_b64 s[4:5], s[6:7]
	s_cbranch_execz .LBB12_32
; %bb.31:                               ;   in Loop: Header=BB12_9 Depth=2
	v_lshl_add_u64 v[16:17], v[20:21], 1, v[22:23]
	global_load_ushort v16, v[16:17], off
.LBB12_32:                              ;   in Loop: Header=BB12_9 Depth=2
	s_or_b64 exec, exec, s[4:5]
	v_mul_lo_u32 v17, v12, s15
	s_and_saveexec_b64 s[8:9], s[54:55]
	s_cbranch_execz .LBB12_35
; %bb.33:                               ;   in Loop: Header=BB12_9 Depth=2
	ds_read_u16 v18, v5
	s_waitcnt vmcnt(0)
	v_lshlrev_b32_e32 v19, 16, v44
	v_cmp_u_f32_e64 s[4:5], v19, v19
	s_waitcnt lgkmcnt(0)
	v_lshlrev_b32_e32 v18, 16, v18
	v_cmp_gt_f32_e32 vcc, v19, v18
	s_or_b64 s[4:5], s[4:5], vcc
	s_and_b64 exec, exec, s[4:5]
	s_cbranch_execz .LBB12_35
; %bb.34:                               ;   in Loop: Header=BB12_9 Depth=2
	v_add_u32_e32 v18, v15, v17
	ds_write_b16 v5, v44
	ds_write_b32 v26, v18
.LBB12_35:                              ;   in Loop: Header=BB12_9 Depth=2
	s_or_b64 exec, exec, s[8:9]
	s_and_saveexec_b64 s[8:9], s[52:53]
	s_cbranch_execz .LBB12_38
; %bb.36:                               ;   in Loop: Header=BB12_9 Depth=2
	ds_read_u16 v18, v5
	s_waitcnt vmcnt(0)
	v_lshlrev_b32_e32 v19, 16, v39
	v_cmp_u_f32_e64 s[4:5], v19, v19
	s_waitcnt lgkmcnt(0)
	v_lshlrev_b32_e32 v18, 16, v18
	v_cmp_gt_f32_e32 vcc, v19, v18
	s_or_b64 s[4:5], s[4:5], vcc
	s_and_b64 exec, exec, s[4:5]
	s_cbranch_execz .LBB12_38
; %bb.37:                               ;   in Loop: Header=BB12_9 Depth=2
	v_add_u32_e32 v18, v35, v17
	ds_write_b16 v5, v39
	ds_write_b32 v26, v18
.LBB12_38:                              ;   in Loop: Header=BB12_9 Depth=2
	s_or_b64 exec, exec, s[8:9]
	s_and_saveexec_b64 s[8:9], s[48:49]
	s_cbranch_execz .LBB12_41
; %bb.39:                               ;   in Loop: Header=BB12_9 Depth=2
	ds_read_u16 v18, v5
	s_waitcnt vmcnt(0)
	v_lshlrev_b32_e32 v19, 16, v43
	v_cmp_u_f32_e64 s[4:5], v19, v19
	s_waitcnt lgkmcnt(0)
	v_lshlrev_b32_e32 v18, 16, v18
	v_cmp_gt_f32_e32 vcc, v19, v18
	s_or_b64 s[4:5], s[4:5], vcc
	s_and_b64 exec, exec, s[4:5]
	s_cbranch_execz .LBB12_41
; %bb.40:                               ;   in Loop: Header=BB12_9 Depth=2
	v_add_u32_e32 v17, v13, v17
	ds_write_b16 v5, v43
	ds_write_b32 v26, v17
.LBB12_41:                              ;   in Loop: Header=BB12_9 Depth=2
	s_or_b64 exec, exec, s[8:9]
	v_mul_lo_u32 v17, v45, s15
	s_and_saveexec_b64 s[8:9], s[50:51]
	s_cbranch_execz .LBB12_44
; %bb.42:                               ;   in Loop: Header=BB12_9 Depth=2
	ds_read_u16 v18, v5
	s_waitcnt vmcnt(0)
	v_lshlrev_b32_e32 v19, 16, v38
	v_cmp_u_f32_e64 s[4:5], v19, v19
	s_waitcnt lgkmcnt(0)
	v_lshlrev_b32_e32 v18, 16, v18
	v_cmp_gt_f32_e32 vcc, v19, v18
	s_or_b64 s[4:5], s[4:5], vcc
	s_and_b64 exec, exec, s[4:5]
	s_cbranch_execz .LBB12_44
; %bb.43:                               ;   in Loop: Header=BB12_9 Depth=2
	v_add_u32_e32 v18, v15, v17
	ds_write_b16 v5, v38
	ds_write_b32 v26, v18
.LBB12_44:                              ;   in Loop: Header=BB12_9 Depth=2
	s_or_b64 exec, exec, s[8:9]
	s_and_saveexec_b64 s[8:9], s[46:47]
	s_cbranch_execz .LBB12_47
; %bb.45:                               ;   in Loop: Header=BB12_9 Depth=2
	ds_read_u16 v18, v5
	s_waitcnt vmcnt(0)
	v_lshlrev_b32_e32 v19, 16, v42
	v_cmp_u_f32_e64 s[4:5], v19, v19
	s_waitcnt lgkmcnt(0)
	v_lshlrev_b32_e32 v18, 16, v18
	v_cmp_gt_f32_e32 vcc, v19, v18
	s_or_b64 s[4:5], s[4:5], vcc
	s_and_b64 exec, exec, s[4:5]
	s_cbranch_execz .LBB12_47
; %bb.46:                               ;   in Loop: Header=BB12_9 Depth=2
	v_add_u32_e32 v18, v35, v17
	ds_write_b16 v5, v42
	ds_write_b32 v26, v18
.LBB12_47:                              ;   in Loop: Header=BB12_9 Depth=2
	s_or_b64 exec, exec, s[8:9]
	s_and_saveexec_b64 s[8:9], s[44:45]
	s_cbranch_execz .LBB12_50
; %bb.48:                               ;   in Loop: Header=BB12_9 Depth=2
	ds_read_u16 v18, v5
	s_waitcnt vmcnt(0)
	v_lshlrev_b32_e32 v19, 16, v37
	v_cmp_u_f32_e64 s[4:5], v19, v19
	s_waitcnt lgkmcnt(0)
	v_lshlrev_b32_e32 v18, 16, v18
	v_cmp_gt_f32_e32 vcc, v19, v18
	s_or_b64 s[4:5], s[4:5], vcc
	s_and_b64 exec, exec, s[4:5]
	s_cbranch_execz .LBB12_50
; %bb.49:                               ;   in Loop: Header=BB12_9 Depth=2
	v_add_u32_e32 v17, v13, v17
	ds_write_b16 v5, v37
	ds_write_b32 v26, v17
.LBB12_50:                              ;   in Loop: Header=BB12_9 Depth=2
	;; [unrolled: 58-line block ×3, first 2 shown]
	s_or_b64 exec, exec, s[8:9]
	s_branch .LBB12_13
.LBB12_60:                              ;   in Loop: Header=BB12_9 Depth=2
	v_cmp_lt_i32_e32 vcc, v12, v32
	s_and_saveexec_b64 s[8:9], vcc
	s_cbranch_execz .LBB12_71
; %bb.61:                               ;   in Loop: Header=BB12_9 Depth=2
	v_cmp_lt_i32_e32 vcc, v15, v34
	s_mov_b64 s[40:41], 0
	v_mov_b32_e32 v13, v12
	s_branch .LBB12_63
.LBB12_62:                              ;   in Loop: Header=BB12_63 Depth=3
	s_or_b64 exec, exec, s[42:43]
	v_add_u32_e32 v13, s24, v13
	v_cmp_ge_i32_e64 s[4:5], v13, v32
	s_or_b64 s[40:41], s[4:5], s[40:41]
	s_andn2_b64 exec, exec, s[40:41]
	s_cbranch_execz .LBB12_71
.LBB12_63:                              ;   Parent Loop BB12_6 Depth=1
                                        ;     Parent Loop BB12_9 Depth=2
                                        ; =>    This Loop Header: Depth=3
                                        ;         Child Loop BB12_66 Depth 4
                                        ;           Child Loop BB12_69 Depth 5
	s_and_saveexec_b64 s[42:43], vcc
	s_cbranch_execz .LBB12_62
; %bb.64:                               ;   in Loop: Header=BB12_63 Depth=3
	s_waitcnt vmcnt(0)
	v_mul_lo_u32 v16, v13, s28
	v_ashrrev_i32_e32 v17, 31, v16
	v_lshl_add_u64 v[16:17], v[16:17], 1, s[10:11]
	v_mul_lo_u32 v22, v13, s15
	s_mov_b64 s[44:45], 0
	v_mov_b32_e32 v23, v15
	s_branch .LBB12_66
.LBB12_65:                              ;   in Loop: Header=BB12_66 Depth=4
	s_or_b64 exec, exec, s[46:47]
	v_add_u32_e32 v23, s25, v23
	v_cmp_ge_i32_e64 s[4:5], v23, v34
	s_or_b64 s[44:45], s[4:5], s[44:45]
	s_andn2_b64 exec, exec, s[44:45]
	s_cbranch_execz .LBB12_62
.LBB12_66:                              ;   Parent Loop BB12_6 Depth=1
                                        ;     Parent Loop BB12_9 Depth=2
                                        ;       Parent Loop BB12_63 Depth=3
                                        ; =>      This Loop Header: Depth=4
                                        ;           Child Loop BB12_69 Depth 5
	s_and_saveexec_b64 s[46:47], s[2:3]
	s_cbranch_execz .LBB12_65
; %bb.67:                               ;   in Loop: Header=BB12_66 Depth=4
	v_mul_lo_u32 v18, v23, s29
	v_ashrrev_i32_e32 v19, 31, v18
	v_lshl_add_u64 v[18:19], v[18:19], 1, v[16:17]
	v_add_u32_e32 v35, v23, v22
	s_mov_b64 s[48:49], 0
	v_mov_b32_e32 v36, v30
	v_mov_b32_e32 v37, v29
	;; [unrolled: 1-line block ×4, first 2 shown]
	s_branch .LBB12_69
.LBB12_68:                              ;   in Loop: Header=BB12_69 Depth=5
	s_or_b64 exec, exec, s[4:5]
	v_add_u32_e32 v38, s16, v38
	v_cmp_le_i32_e64 s[4:5], s13, v38
	v_add_u32_e32 v20, s60, v20
	v_add_u32_e32 v37, s61, v37
	s_or_b64 s[48:49], s[4:5], s[48:49]
	v_add_u32_e32 v36, s62, v36
	s_andn2_b64 exec, exec, s[48:49]
	s_cbranch_execz .LBB12_65
.LBB12_69:                              ;   Parent Loop BB12_6 Depth=1
                                        ;     Parent Loop BB12_9 Depth=2
                                        ;       Parent Loop BB12_63 Depth=3
                                        ;         Parent Loop BB12_66 Depth=4
                                        ; =>        This Inner Loop Header: Depth=5
	v_ashrrev_i32_e32 v21, 31, v20
	v_lshl_add_u64 v[40:41], v[20:21], 1, v[18:19]
	global_load_ushort v21, v[40:41], off
	ds_read_u16 v39, v37
	s_waitcnt lgkmcnt(0)
	v_lshlrev_b32_e32 v39, 16, v39
	s_waitcnt vmcnt(0)
	v_lshlrev_b32_e32 v40, 16, v21
	v_cmp_gt_f32_e64 s[4:5], v40, v39
	v_cmp_u_f32_e64 s[6:7], v40, v40
	s_or_b64 s[6:7], s[6:7], s[4:5]
	s_and_saveexec_b64 s[4:5], s[6:7]
	s_cbranch_execz .LBB12_68
; %bb.70:                               ;   in Loop: Header=BB12_69 Depth=5
	ds_write_b16 v37, v21
	ds_write_b32 v36, v35
	s_branch .LBB12_68
.LBB12_71:                              ;   in Loop: Header=BB12_9 Depth=2
	s_or_b64 exec, exec, s[8:9]
	s_and_saveexec_b64 s[4:5], s[2:3]
	s_cbranch_execz .LBB12_8
.LBB12_72:                              ;   in Loop: Header=BB12_9 Depth=2
	v_ashrrev_i32_e32 v15, 31, v14
	s_waitcnt vmcnt(0)
	v_lshl_add_u64 v[16:17], v[14:15], 1, v[8:9]
	v_lshl_add_u64 v[18:19], v[14:15], 3, v[10:11]
	s_mov_b64 s[6:7], 0
	v_mov_b32_e32 v13, v30
	v_mov_b32_e32 v15, v29
	;; [unrolled: 1-line block ×3, first 2 shown]
.LBB12_73:                              ;   Parent Loop BB12_6 Depth=1
                                        ;     Parent Loop BB12_9 Depth=2
                                        ; =>    This Inner Loop Header: Depth=3
	ds_read_u16 v21, v15
	ds_read_b32 v22, v13
	v_add_u32_e32 v20, s16, v20
	v_cmp_le_i32_e32 vcc, s13, v20
	ds_write_b16 v15, v1
	ds_write_b32 v13, v28
	v_add_u32_e32 v15, s61, v15
	s_waitcnt lgkmcnt(2)
	v_ashrrev_i32_e32 v23, 31, v22
	v_add_u32_e32 v13, s62, v13
	s_or_b64 s[6:7], vcc, s[6:7]
	global_store_short v[16:17], v21, off
	v_lshl_add_u64 v[16:17], v[16:17], 0, s[26:27]
	global_store_dwordx2 v[18:19], v[22:23], off
	v_lshl_add_u64 v[18:19], v[18:19], 0, s[30:31]
	s_andn2_b64 exec, exec, s[6:7]
	s_cbranch_execnz .LBB12_73
	s_branch .LBB12_8
.LBB12_74:
	s_endpgm
	.section	.rodata,"a",@progbits
	.p2align	6, 0x0
	.amdhsa_kernel _ZN2at6native12_GLOBAL__N_121max_pool_forward_nhwcIN3c108BFloat16EiEEvPKT_iT0_S8_S8_S8_S8_iiiiiiiiS8_S8_S8_S8_iiPS5_Pl
		.amdhsa_group_segment_fixed_size 0
		.amdhsa_private_segment_fixed_size 0
		.amdhsa_kernarg_size 360
		.amdhsa_user_sgpr_count 2
		.amdhsa_user_sgpr_dispatch_ptr 0
		.amdhsa_user_sgpr_queue_ptr 0
		.amdhsa_user_sgpr_kernarg_segment_ptr 1
		.amdhsa_user_sgpr_dispatch_id 0
		.amdhsa_user_sgpr_kernarg_preload_length 0
		.amdhsa_user_sgpr_kernarg_preload_offset 0
		.amdhsa_user_sgpr_private_segment_size 0
		.amdhsa_uses_dynamic_stack 0
		.amdhsa_enable_private_segment 0
		.amdhsa_system_sgpr_workgroup_id_x 1
		.amdhsa_system_sgpr_workgroup_id_y 1
		.amdhsa_system_sgpr_workgroup_id_z 1
		.amdhsa_system_sgpr_workgroup_info 0
		.amdhsa_system_vgpr_workitem_id 2
		.amdhsa_next_free_vgpr 46
		.amdhsa_next_free_sgpr 65
		.amdhsa_accum_offset 48
		.amdhsa_reserve_vcc 1
		.amdhsa_float_round_mode_32 0
		.amdhsa_float_round_mode_16_64 0
		.amdhsa_float_denorm_mode_32 3
		.amdhsa_float_denorm_mode_16_64 3
		.amdhsa_dx10_clamp 1
		.amdhsa_ieee_mode 1
		.amdhsa_fp16_overflow 0
		.amdhsa_tg_split 0
		.amdhsa_exception_fp_ieee_invalid_op 0
		.amdhsa_exception_fp_denorm_src 0
		.amdhsa_exception_fp_ieee_div_zero 0
		.amdhsa_exception_fp_ieee_overflow 0
		.amdhsa_exception_fp_ieee_underflow 0
		.amdhsa_exception_fp_ieee_inexact 0
		.amdhsa_exception_int_div_zero 0
	.end_amdhsa_kernel
	.section	.text._ZN2at6native12_GLOBAL__N_121max_pool_forward_nhwcIN3c108BFloat16EiEEvPKT_iT0_S8_S8_S8_S8_iiiiiiiiS8_S8_S8_S8_iiPS5_Pl,"axG",@progbits,_ZN2at6native12_GLOBAL__N_121max_pool_forward_nhwcIN3c108BFloat16EiEEvPKT_iT0_S8_S8_S8_S8_iiiiiiiiS8_S8_S8_S8_iiPS5_Pl,comdat
.Lfunc_end12:
	.size	_ZN2at6native12_GLOBAL__N_121max_pool_forward_nhwcIN3c108BFloat16EiEEvPKT_iT0_S8_S8_S8_S8_iiiiiiiiS8_S8_S8_S8_iiPS5_Pl, .Lfunc_end12-_ZN2at6native12_GLOBAL__N_121max_pool_forward_nhwcIN3c108BFloat16EiEEvPKT_iT0_S8_S8_S8_S8_iiiiiiiiS8_S8_S8_S8_iiPS5_Pl
                                        ; -- End function
	.set _ZN2at6native12_GLOBAL__N_121max_pool_forward_nhwcIN3c108BFloat16EiEEvPKT_iT0_S8_S8_S8_S8_iiiiiiiiS8_S8_S8_S8_iiPS5_Pl.num_vgpr, 46
	.set _ZN2at6native12_GLOBAL__N_121max_pool_forward_nhwcIN3c108BFloat16EiEEvPKT_iT0_S8_S8_S8_S8_iiiiiiiiS8_S8_S8_S8_iiPS5_Pl.num_agpr, 0
	.set _ZN2at6native12_GLOBAL__N_121max_pool_forward_nhwcIN3c108BFloat16EiEEvPKT_iT0_S8_S8_S8_S8_iiiiiiiiS8_S8_S8_S8_iiPS5_Pl.numbered_sgpr, 65
	.set _ZN2at6native12_GLOBAL__N_121max_pool_forward_nhwcIN3c108BFloat16EiEEvPKT_iT0_S8_S8_S8_S8_iiiiiiiiS8_S8_S8_S8_iiPS5_Pl.num_named_barrier, 0
	.set _ZN2at6native12_GLOBAL__N_121max_pool_forward_nhwcIN3c108BFloat16EiEEvPKT_iT0_S8_S8_S8_S8_iiiiiiiiS8_S8_S8_S8_iiPS5_Pl.private_seg_size, 0
	.set _ZN2at6native12_GLOBAL__N_121max_pool_forward_nhwcIN3c108BFloat16EiEEvPKT_iT0_S8_S8_S8_S8_iiiiiiiiS8_S8_S8_S8_iiPS5_Pl.uses_vcc, 1
	.set _ZN2at6native12_GLOBAL__N_121max_pool_forward_nhwcIN3c108BFloat16EiEEvPKT_iT0_S8_S8_S8_S8_iiiiiiiiS8_S8_S8_S8_iiPS5_Pl.uses_flat_scratch, 0
	.set _ZN2at6native12_GLOBAL__N_121max_pool_forward_nhwcIN3c108BFloat16EiEEvPKT_iT0_S8_S8_S8_S8_iiiiiiiiS8_S8_S8_S8_iiPS5_Pl.has_dyn_sized_stack, 0
	.set _ZN2at6native12_GLOBAL__N_121max_pool_forward_nhwcIN3c108BFloat16EiEEvPKT_iT0_S8_S8_S8_S8_iiiiiiiiS8_S8_S8_S8_iiPS5_Pl.has_recursion, 0
	.set _ZN2at6native12_GLOBAL__N_121max_pool_forward_nhwcIN3c108BFloat16EiEEvPKT_iT0_S8_S8_S8_S8_iiiiiiiiS8_S8_S8_S8_iiPS5_Pl.has_indirect_call, 0
	.section	.AMDGPU.csdata,"",@progbits
; Kernel info:
; codeLenInByte = 3000
; TotalNumSgprs: 71
; NumVgprs: 46
; NumAgprs: 0
; TotalNumVgprs: 46
; ScratchSize: 0
; MemoryBound: 0
; FloatMode: 240
; IeeeMode: 1
; LDSByteSize: 0 bytes/workgroup (compile time only)
; SGPRBlocks: 8
; VGPRBlocks: 5
; NumSGPRsForWavesPerEU: 71
; NumVGPRsForWavesPerEU: 46
; AccumOffset: 48
; Occupancy: 8
; WaveLimiterHint : 1
; COMPUTE_PGM_RSRC2:SCRATCH_EN: 0
; COMPUTE_PGM_RSRC2:USER_SGPR: 2
; COMPUTE_PGM_RSRC2:TRAP_HANDLER: 0
; COMPUTE_PGM_RSRC2:TGID_X_EN: 1
; COMPUTE_PGM_RSRC2:TGID_Y_EN: 1
; COMPUTE_PGM_RSRC2:TGID_Z_EN: 1
; COMPUTE_PGM_RSRC2:TIDIG_COMP_CNT: 2
; COMPUTE_PGM_RSRC3_GFX90A:ACCUM_OFFSET: 11
; COMPUTE_PGM_RSRC3_GFX90A:TG_SPLIT: 0
	.section	.text._ZN2at6native12_GLOBAL__N_121max_pool_forward_nhwcIN3c108BFloat16ElEEvPKT_iT0_S8_S8_S8_S8_iiiiiiiiS8_S8_S8_S8_iiPS5_Pl,"axG",@progbits,_ZN2at6native12_GLOBAL__N_121max_pool_forward_nhwcIN3c108BFloat16ElEEvPKT_iT0_S8_S8_S8_S8_iiiiiiiiS8_S8_S8_S8_iiPS5_Pl,comdat
	.globl	_ZN2at6native12_GLOBAL__N_121max_pool_forward_nhwcIN3c108BFloat16ElEEvPKT_iT0_S8_S8_S8_S8_iiiiiiiiS8_S8_S8_S8_iiPS5_Pl ; -- Begin function _ZN2at6native12_GLOBAL__N_121max_pool_forward_nhwcIN3c108BFloat16ElEEvPKT_iT0_S8_S8_S8_S8_iiiiiiiiS8_S8_S8_S8_iiPS5_Pl
	.p2align	8
	.type	_ZN2at6native12_GLOBAL__N_121max_pool_forward_nhwcIN3c108BFloat16ElEEvPKT_iT0_S8_S8_S8_S8_iiiiiiiiS8_S8_S8_S8_iiPS5_Pl,@function
_ZN2at6native12_GLOBAL__N_121max_pool_forward_nhwcIN3c108BFloat16ElEEvPKT_iT0_S8_S8_S8_S8_iiiiiiiiS8_S8_S8_S8_iiPS5_Pl: ; @_ZN2at6native12_GLOBAL__N_121max_pool_forward_nhwcIN3c108BFloat16ElEEvPKT_iT0_S8_S8_S8_S8_iiiiiiiiS8_S8_S8_S8_iiPS5_Pl
; %bb.0:
	s_load_dwordx4 s[8:11], s[0:1], 0x94
	s_load_dwordx2 s[6:7], s[0:1], 0x78
	v_bfe_u32 v2, v0, 10, 10
	v_bfe_u32 v3, v0, 20, 10
	v_and_b32_e32 v8, 0x3ff, v0
	s_waitcnt lgkmcnt(0)
	s_and_b32 s14, s10, 0xffff
	s_lshr_b32 s72, s10, 16
	s_mul_i32 s5, s7, s14
	s_and_b32 s33, s11, 0xffff
	s_mul_i32 s15, s5, s72
	v_mad_u32_u24 v9, v3, s72, v2
	s_mul_i32 s15, s15, s33
	v_mad_u64_u32 v[0:1], s[10:11], v9, s14, v[8:9]
	v_cmp_gt_u32_e32 vcc, s15, v0
	s_and_saveexec_b64 s[10:11], vcc
	s_cbranch_execz .LBB13_3
; %bb.1:
	s_mul_i32 s16, s72, s14
	s_lshl_b32 s12, s15, 3
	s_mul_i32 s16, s16, s33
	s_add_i32 s12, s12, 0
	v_mov_b32_e32 v6, 0
	v_lshl_add_u32 v1, v0, 1, s12
	s_lshl_b32 s17, s16, 1
	v_lshl_add_u32 v4, v0, 3, 0
	s_lshl_b32 s18, s16, 3
	s_mov_b64 s[12:13], 0
	v_mov_b32_e32 v5, 0xffffff80
	v_mov_b32_e32 v7, v6
.LBB13_2:                               ; =>This Inner Loop Header: Depth=1
	v_add_u32_e32 v0, s16, v0
	v_cmp_le_u32_e32 vcc, s15, v0
	ds_write_b16 v1, v5
	ds_write_b64 v4, v[6:7]
	v_add_u32_e32 v1, s17, v1
	s_or_b64 s[12:13], vcc, s[12:13]
	v_add_u32_e32 v4, s18, v4
	s_andn2_b64 exec, exec, s[12:13]
	s_cbranch_execnz .LBB13_2
.LBB13_3:
	s_or_b64 exec, exec, s[10:11]
	v_cvt_f32_u32_e32 v0, s9
	s_load_dword s10, s[0:1], 0x8
	s_load_dwordx8 s[20:27], s[0:1], 0x10
	s_sub_i32 s11, 0, s9
	s_waitcnt lgkmcnt(0)
	v_rcp_iflag_f32_e32 v0, v0
	v_cvt_f32_u32_e32 v1, s10
	s_add_i32 s12, s26, s9
	s_add_i32 s12, s12, -1
	v_mul_f32_e32 v0, 0x4f7ffffe, v0
	v_cvt_u32_f32_e32 v0, v0
	v_rcp_iflag_f32_e32 v1, v1
	s_barrier
	v_readfirstlane_b32 s13, v0
	s_mul_i32 s16, s11, s13
	s_mul_hi_u32 s16, s13, s16
	v_cvt_f32_u32_e32 v0, s8
	s_add_i32 s13, s13, s16
	s_mul_hi_u32 s13, s12, s13
	s_mul_i32 s16, s13, s9
	s_sub_i32 s12, s12, s16
	v_rcp_iflag_f32_e32 v0, v0
	s_add_i32 s16, s13, 1
	s_sub_i32 s17, s12, s9
	s_cmp_ge_u32 s12, s9
	s_cselect_b32 s13, s16, s13
	s_cselect_b32 s12, s17, s12
	v_mul_f32_e32 v0, 0x4f7ffffe, v0
	s_add_i32 s16, s13, 1
	v_cvt_u32_f32_e32 v0, v0
	s_cmp_ge_u32 s12, s9
	v_mul_f32_e32 v1, 0x4f7ffffe, v1
	s_cselect_b32 s12, s16, s13
	v_cvt_u32_f32_e32 v1, v1
	s_mul_i32 s4, s12, s4
	v_add_u32_e32 v40, s4, v3
	v_readfirstlane_b32 s9, v0
	v_add_u32_e32 v0, s12, v40
	v_min_i32_e32 v41, s26, v0
	v_readfirstlane_b32 s11, v1
	v_cmp_lt_i32_e32 vcc, v40, v41
	s_and_saveexec_b64 s[12:13], vcc
	s_cbranch_execz .LBB13_78
; %bb.4:
	s_load_dwordx2 s[18:19], s[0:1], 0x30
	s_load_dwordx2 s[12:13], s[0:1], 0x0
	s_sub_i32 s4, 0, s10
	s_mul_i32 s4, s4, s11
	s_mul_hi_u32 s4, s11, s4
	s_add_i32 s11, s11, s4
	s_mul_hi_u32 s4, s2, s11
	s_waitcnt lgkmcnt(0)
	s_add_i32 s11, s18, s8
	s_add_i32 s16, s11, -1
	s_sub_i32 s11, 0, s8
	s_mul_i32 s11, s11, s9
	s_mul_hi_u32 s11, s9, s11
	s_add_i32 s9, s9, s11
	s_lshl_b32 s11, s15, 3
	s_add_i32 s15, s11, 0
	s_mul_i32 s11, s4, s10
	s_sub_i32 s11, s2, s11
	s_add_i32 s17, s4, 1
	s_sub_i32 s28, s11, s10
	s_cmp_ge_u32 s11, s10
	s_cselect_b32 s4, s17, s4
	s_cselect_b32 s11, s28, s11
	s_add_i32 s17, s4, 1
	s_load_dwordx8 s[36:43], s[0:1], 0x58
	s_cmp_ge_u32 s11, s10
	s_cselect_b32 s4, s17, s4
	s_mul_i32 s10, s4, s10
	s_sub_i32 s17, s2, s10
	s_ashr_i32 s58, s17, 31
	s_waitcnt lgkmcnt(0)
	s_mul_i32 s2, s36, s58
	s_mul_hi_u32 s10, s36, s17
	s_add_i32 s2, s10, s2
	s_mul_i32 s10, s37, s17
	s_add_i32 s11, s2, s10
	s_mul_i32 s10, s36, s17
	s_mul_hi_u32 s9, s16, s9
	s_lshl_b64 s[10:11], s[10:11], 1
	s_add_u32 s28, s12, s10
	s_mul_i32 s2, s9, s8
	s_addc_u32 s29, s13, s11
	s_sub_i32 s2, s16, s2
	v_mul_lo_u32 v0, s5, v9
	s_add_i32 s5, s9, 1
	s_sub_i32 s10, s2, s8
	s_cmp_ge_u32 s2, s8
	s_cselect_b32 s5, s5, s9
	s_load_dwordx8 s[44:51], s[0:1], 0x38
	s_cselect_b32 s2, s10, s2
	s_add_i32 s9, s5, 1
	s_cmp_ge_u32 s2, s8
	s_cselect_b32 s2, s9, s5
	s_load_dwordx4 s[8:11], s[0:1], 0x80
	s_mul_i32 s0, s2, s3
	v_add_u32_e32 v42, s0, v2
	v_lshlrev_b32_e32 v14, 1, v0
	v_lshlrev_b32_e32 v15, 3, v0
	v_add_u32_e32 v0, s2, v42
	s_waitcnt lgkmcnt(0)
	s_add_i32 s0, s44, -1
	s_add_i32 s2, s45, -1
	s_mul_i32 s0, s50, s0
	s_mul_i32 s2, s51, s2
	s_add_i32 s30, s0, 1
	s_add_i32 s34, s2, 1
	s_ashr_i32 s73, s48, 31
	s_ashr_i32 s31, s30, 31
	s_ashr_i32 s75, s49, 31
	s_ashr_i32 s35, s34, 31
	s_ashr_i32 s37, s50, 31
	s_ashr_i32 s53, s51, 31
	s_max_i32 s2, s44, s45
	s_mul_i32 s44, s6, s14
	s_cmp_lt_i32 s2, 4
	v_mov_b32_e32 v2, s44
	v_mov_b32_e32 v3, 0
	s_mov_b32 s36, s50
	s_cselect_b64 s[2:3], -1, 0
	v_cmp_le_i64_e32 vcc, s[20:21], v[2:3]
	v_mov_b32_e32 v10, s8
	v_mov_b32_e32 v11, s9
	;; [unrolled: 1-line block ×3, first 2 shown]
	s_and_b64 s[54:55], s[2:3], vcc
	s_ashr_i32 s10, s6, 31
	v_cmp_gt_u64_e64 s[8:9], s[36:37], 1
	s_and_b64 s[8:9], s[8:9], exec
	s_mul_i32 s4, s4, s14
	s_cselect_b32 s77, s37, 0
	s_cselect_b32 s78, s50, 1
	s_add_u32 s8, s49, s51
	v_min_i32_e32 v43, s18, v0
	v_add_u32_e32 v0, s4, v8
	s_addc_u32 s9, s75, s53
	v_ashrrev_i32_e32 v1, 31, v0
	s_sub_u32 s56, 0, s8
	v_mul_lo_u32 v2, s38, v1
	v_mul_lo_u32 v6, s39, v0
	v_mad_u64_u32 v[4:5], s[4:5], s38, v0, 0
	s_subb_u32 s57, 0, s9
	s_mul_hi_u32 s8, s38, s6
	s_mul_i32 s9, s38, s10
	v_add3_u32 v5, v5, v2, v6
	s_mul_hi_i32 s45, s14, s6
	v_lshlrev_b32_e32 v2, 1, v8
	s_add_i32 s8, s8, s9
	s_mul_i32 s9, s39, s6
	s_mul_i32 s6, s38, s6
	v_add3_u32 v44, s15, v14, v2
	s_add_i32 s8, s8, s9
	s_mul_hi_u32 s9, s6, s14
	s_mul_i32 s38, s6, s14
	s_mul_i32 s6, s72, s33
	v_lshlrev_b32_e32 v14, 1, v9
	v_lshl_add_u32 v14, s6, 3, v14
	v_mul_lo_u32 v14, s7, v14
	v_mul_lo_u32 v14, v14, s14
	s_mul_i32 s8, s8, s14
	v_add3_u32 v46, v14, v2, 0
	v_mul_lo_u32 v2, s7, v9
	s_mul_i32 s6, s18, s27
	s_mul_hi_u32 s7, s18, s26
	s_add_i32 s39, s9, s8
	s_add_i32 s6, s7, s6
	s_mul_i32 s7, s19, s26
	s_mul_i32 s8, s18, s26
	s_add_i32 s6, s6, s7
	s_mul_i32 s7, s8, s58
	s_mul_hi_u32 s9, s8, s17
	v_mul_lo_u32 v2, v2, s14
	s_add_i32 s7, s9, s7
	s_mul_i32 s6, s6, s17
	v_mov_b32_e32 v13, s11
	v_lshlrev_b32_e32 v8, 3, v8
	v_lshlrev_b32_e32 v2, 3, v2
	s_add_i32 s7, s7, s6
	s_mul_i32 s6, s8, s17
	s_mov_b32 s74, s48
	v_cmp_lt_i32_e64 s[0:1], v42, v43
	s_mov_b32 s76, s49
	s_mov_b32 s52, s51
	v_cmp_le_i64_e64 s[2:3], s[20:21], v[0:1]
	v_lshl_add_u64 v[6:7], v[4:5], 1, s[28:29]
	v_cmp_gt_i64_e64 s[4:5], s[20:21], v[0:1]
	v_add3_u32 v45, 0, v15, v8
	s_mov_b64 s[48:49], 0
	s_lshl_b32 s79, s14, 1
	v_add3_u32 v47, v2, v8, 0
	s_lshl_b32 s80, s14, 3
	v_lshl_add_u64 v[8:9], v[0:1], 3, v[12:13]
	s_lshl_b64 s[26:27], s[6:7], 3
	s_lshl_b64 s[58:59], s[44:45], 3
	v_lshl_add_u64 v[10:11], v[0:1], 1, v[10:11]
	s_lshl_b64 s[60:61], s[6:7], 1
	s_lshl_b64 s[62:63], s[44:45], 1
	v_mov_b32_e32 v48, 0xffffff80
	v_mov_b32_e32 v60, v3
	;; [unrolled: 1-line block ×3, first 2 shown]
	s_branch .LBB13_6
.LBB13_5:                               ;   in Loop: Header=BB13_6 Depth=1
	s_or_b64 exec, exec, s[64:65]
	v_add_u32_e32 v40, s33, v40
	v_cmp_ge_i32_e32 vcc, v40, v41
	s_or_b64 s[48:49], vcc, s[48:49]
	s_andn2_b64 exec, exec, s[48:49]
	s_cbranch_execz .LBB13_78
.LBB13_6:                               ; =>This Loop Header: Depth=1
                                        ;     Child Loop BB13_9 Depth 2
                                        ;       Child Loop BB13_14 Depth 3
                                        ;       Child Loop BB13_67 Depth 3
                                        ;         Child Loop BB13_70 Depth 4
                                        ;           Child Loop BB13_73 Depth 5
                                        ;       Child Loop BB13_77 Depth 3
	s_and_saveexec_b64 s[64:65], s[0:1]
	s_cbranch_execz .LBB13_5
; %bb.7:                                ;   in Loop: Header=BB13_6 Depth=1
	s_waitcnt vmcnt(0)
	v_ashrrev_i32_e32 v2, 31, v40
	v_mul_lo_u32 v14, s19, v40
	v_mul_lo_u32 v2, s18, v2
	v_mad_u64_u32 v[12:13], s[6:7], s18, v40, 0
	v_add3_u32 v13, v13, v2, v14
	v_mad_i64_i32 v[14:15], s[6:7], v40, s46, 0
	v_mov_b32_e32 v2, s73
	v_subrev_co_u32_e32 v14, vcc, s74, v14
	s_mov_b64 s[66:67], 0
	s_nop 0
	v_subb_co_u32_e32 v15, vcc, v15, v2, vcc
	v_lshl_add_u64 v[16:17], v[14:15], 0, s[30:31]
	v_mov_b32_e32 v2, s23
	v_cmp_gt_i64_e32 vcc, s[22:23], v[16:17]
	v_mov_b32_e32 v18, v42
	s_nop 0
	v_cndmask_b32_e32 v17, v2, v17, vcc
	v_mov_b32_e32 v2, s22
	v_cndmask_b32_e32 v16, v2, v16, vcc
	s_branch .LBB13_9
.LBB13_8:                               ;   in Loop: Header=BB13_9 Depth=2
	s_or_b64 exec, exec, s[6:7]
	v_add_u32_e32 v18, s72, v18
	v_cmp_ge_i32_e32 vcc, v18, v43
	s_or_b64 s[66:67], vcc, s[66:67]
	s_andn2_b64 exec, exec, s[66:67]
	s_cbranch_execz .LBB13_5
.LBB13_9:                               ;   Parent Loop BB13_6 Depth=1
                                        ; =>  This Loop Header: Depth=2
                                        ;       Child Loop BB13_14 Depth 3
                                        ;       Child Loop BB13_67 Depth 3
                                        ;         Child Loop BB13_70 Depth 4
                                        ;           Child Loop BB13_73 Depth 5
                                        ;       Child Loop BB13_77 Depth 3
	v_cmp_lt_i64_e32 vcc, 0, v[14:15]
	s_waitcnt vmcnt(0)
	v_lshrrev_b32_e32 v2, 31, v15
	v_lshl_add_u64 v[20:21], v[14:15], 0, v[2:3]
	v_cndmask_b32_e32 v19, 0, v14, vcc
	v_cndmask_b32_e32 v22, 0, v15, vcc
	v_sub_co_u32_e32 v19, vcc, v19, v20
	s_nop 1
	v_subb_co_u32_e32 v20, vcc, v22, v21, vcc
	v_or_b32_e32 v23, s77, v20
	v_mov_b32_e32 v22, v3
	v_cmp_ne_u64_e32 vcc, 0, v[22:23]
                                        ; implicit-def: $vgpr22_vgpr23
	s_and_saveexec_b64 s[6:7], vcc
	s_xor_b64 s[8:9], exec, s[6:7]
	s_cbranch_execz .LBB13_11
; %bb.10:                               ;   in Loop: Header=BB13_9 Depth=2
	v_cvt_f32_u32_e32 v21, s78
	v_cvt_f32_u32_e32 v22, s77
	s_sub_u32 s10, 0, s78
	s_subb_u32 s11, 0, s77
	v_mov_b32_e32 v25, v3
	v_fmac_f32_e32 v21, 0x4f800000, v22
	v_rcp_f32_e32 v21, v21
	s_nop 0
	v_mul_f32_e32 v21, 0x5f7ffffc, v21
	v_mul_f32_e32 v22, 0x2f800000, v21
	v_trunc_f32_e32 v22, v22
	v_fmac_f32_e32 v21, 0xcf800000, v22
	v_cvt_u32_f32_e32 v22, v22
	v_cvt_u32_f32_e32 v21, v21
	v_readfirstlane_b32 s12, v22
	v_readfirstlane_b32 s6, v21
	s_mul_i32 s7, s10, s12
	s_mul_hi_u32 s14, s10, s6
	s_mul_i32 s13, s11, s6
	s_add_i32 s7, s14, s7
	s_mul_i32 s15, s10, s6
	s_add_i32 s7, s7, s13
	s_mul_i32 s14, s6, s7
	s_mul_hi_u32 s16, s6, s15
	s_mul_hi_u32 s13, s6, s7
	s_add_u32 s14, s16, s14
	s_addc_u32 s13, 0, s13
	s_mul_hi_u32 s17, s12, s15
	s_mul_i32 s15, s12, s15
	s_add_u32 s14, s14, s15
	s_mul_hi_u32 s16, s12, s7
	s_addc_u32 s13, s13, s17
	s_addc_u32 s14, s16, 0
	s_mul_i32 s7, s12, s7
	s_add_u32 s7, s13, s7
	s_addc_u32 s13, 0, s14
	s_add_u32 s14, s6, s7
	s_cselect_b64 s[6:7], -1, 0
	s_cmp_lg_u64 s[6:7], 0
	s_addc_u32 s12, s12, s13
	s_mul_i32 s6, s10, s12
	s_mul_hi_u32 s7, s10, s14
	s_add_i32 s6, s7, s6
	s_mul_i32 s11, s11, s14
	s_add_i32 s6, s6, s11
	s_mul_i32 s10, s10, s14
	s_mul_hi_u32 s11, s12, s10
	s_mul_i32 s13, s12, s10
	s_mul_i32 s16, s14, s6
	s_mul_hi_u32 s10, s14, s10
	s_mul_hi_u32 s15, s14, s6
	s_add_u32 s10, s10, s16
	s_addc_u32 s15, 0, s15
	s_add_u32 s10, s10, s13
	s_mul_hi_u32 s7, s12, s6
	s_addc_u32 s10, s15, s11
	s_addc_u32 s7, s7, 0
	s_mul_i32 s6, s12, s6
	s_add_u32 s6, s10, s6
	s_addc_u32 s10, 0, s7
	s_add_u32 s11, s14, s6
	s_cselect_b64 s[6:7], -1, 0
	s_cmp_lg_u64 s[6:7], 0
	s_addc_u32 s10, s12, s10
	v_mad_u64_u32 v[22:23], s[6:7], v19, s10, 0
	v_mul_hi_u32 v24, v19, s11
	v_lshl_add_u64 v[22:23], v[24:25], 0, v[22:23]
	v_mad_u64_u32 v[26:27], s[6:7], v20, s11, 0
	v_add_co_u32_e32 v21, vcc, v22, v26
	v_mad_u64_u32 v[24:25], s[6:7], v20, s10, 0
	s_nop 0
	v_addc_co_u32_e32 v22, vcc, v23, v27, vcc
	v_mov_b32_e32 v23, v3
	s_nop 0
	v_addc_co_u32_e32 v25, vcc, 0, v25, vcc
	v_lshl_add_u64 v[22:23], v[22:23], 0, v[24:25]
	v_mul_lo_u32 v21, s77, v22
	v_mul_lo_u32 v26, s78, v23
	v_mad_u64_u32 v[24:25], s[6:7], s78, v22, 0
	v_add3_u32 v21, v25, v26, v21
	v_sub_u32_e32 v25, v20, v21
	v_mov_b32_e32 v26, s77
	v_sub_co_u32_e32 v19, vcc, v19, v24
	s_nop 1
	v_subb_co_u32_e64 v24, s[6:7], v25, v26, vcc
	v_subrev_co_u32_e64 v25, s[6:7], s78, v19
	v_subb_co_u32_e32 v20, vcc, v20, v21, vcc
	s_nop 0
	v_subbrev_co_u32_e64 v24, s[6:7], 0, v24, s[6:7]
	v_cmp_le_u32_e64 s[6:7], s77, v24
	v_cmp_le_u32_e32 vcc, s77, v20
	s_nop 0
	v_cndmask_b32_e64 v26, 0, -1, s[6:7]
	v_cmp_le_u32_e64 s[6:7], s78, v25
	v_cndmask_b32_e64 v21, 0, -1, vcc
	v_cmp_le_u32_e32 vcc, s78, v19
	v_cndmask_b32_e64 v25, 0, -1, s[6:7]
	v_cmp_eq_u32_e64 s[6:7], s77, v24
	v_cndmask_b32_e64 v19, 0, -1, vcc
	v_cmp_eq_u32_e32 vcc, s77, v20
	v_cndmask_b32_e64 v28, v26, v25, s[6:7]
	v_lshl_add_u64 v[24:25], v[22:23], 0, 2
	v_lshl_add_u64 v[26:27], v[22:23], 0, 1
	v_cmp_ne_u32_e64 s[6:7], 0, v28
	v_cndmask_b32_e32 v19, v21, v19, vcc
	v_cmp_ne_u32_e32 vcc, 0, v19
	v_cndmask_b32_e64 v25, v27, v25, s[6:7]
	v_cndmask_b32_e64 v19, v26, v24, s[6:7]
	v_cndmask_b32_e32 v23, v23, v25, vcc
	v_cndmask_b32_e32 v22, v22, v19, vcc
                                        ; implicit-def: $vgpr19
.LBB13_11:                              ;   in Loop: Header=BB13_9 Depth=2
	s_andn2_saveexec_b64 s[6:7], s[8:9]
	s_cbranch_execz .LBB13_13
; %bb.12:                               ;   in Loop: Header=BB13_9 Depth=2
	v_cvt_f32_u32_e32 v20, s78
	s_sub_i32 s8, 0, s78
	v_mov_b32_e32 v23, v3
	v_rcp_iflag_f32_e32 v20, v20
	s_nop 0
	v_mul_f32_e32 v20, 0x4f7ffffe, v20
	v_cvt_u32_f32_e32 v20, v20
	v_mul_lo_u32 v21, s8, v20
	v_mul_hi_u32 v21, v20, v21
	v_add_u32_e32 v20, v20, v21
	v_mul_hi_u32 v20, v19, v20
	v_mul_lo_u32 v21, v20, s78
	v_sub_u32_e32 v19, v19, v21
	v_add_u32_e32 v22, 1, v20
	v_subrev_u32_e32 v21, s78, v19
	v_cmp_le_u32_e32 vcc, s78, v19
	s_nop 1
	v_cndmask_b32_e32 v19, v19, v21, vcc
	v_cndmask_b32_e32 v20, v20, v22, vcc
	v_add_u32_e32 v21, 1, v20
	v_cmp_le_u32_e32 vcc, s78, v19
	s_nop 1
	v_cndmask_b32_e32 v22, v20, v21, vcc
.LBB13_13:                              ;   in Loop: Header=BB13_9 Depth=2
	s_or_b64 exec, exec, s[6:7]
	v_mov_b64_e32 v[20:21], s[56:57]
	v_mad_i64_i32 v[24:25], s[6:7], s47, v18, 0
	v_mad_i64_i32 v[20:21], s[6:7], s47, v18, v[20:21]
	v_ashrrev_i32_e32 v19, 31, v18
	s_mov_b64 s[6:7], 0
.LBB13_14:                              ;   Parent Loop BB13_6 Depth=1
                                        ;     Parent Loop BB13_9 Depth=2
                                        ; =>    This Inner Loop Header: Depth=3
	v_lshl_add_u64 v[20:21], v[20:21], 0, s[52:53]
	v_cmp_lt_i64_e32 vcc, -1, v[20:21]
	s_or_b64 s[6:7], vcc, s[6:7]
	s_andn2_b64 exec, exec, s[6:7]
	s_cbranch_execnz .LBB13_14
; %bb.15:                               ;   in Loop: Header=BB13_9 Depth=2
	s_or_b64 exec, exec, s[6:7]
	v_mov_b32_e32 v26, s75
	v_subrev_co_u32_e32 v24, vcc, s76, v24
	s_nop 1
	v_subb_co_u32_e32 v25, vcc, v25, v26, vcc
	v_lshl_add_u64 v[24:25], v[24:25], 0, s[34:35]
	v_lshl_add_u64 v[26:27], v[2:3], 0, v[22:23]
	v_mov_b32_e32 v2, s25
	v_cmp_gt_i64_e32 vcc, s[24:25], v[24:25]
	v_mad_u64_u32 v[14:15], s[6:7], v26, s36, v[14:15]
	s_nop 0
	v_cndmask_b32_e32 v23, v2, v25, vcc
	v_mov_b32_e32 v2, s24
	v_cndmask_b32_e32 v22, v2, v24, vcc
	v_mul_lo_u32 v2, v26, s37
	v_mul_lo_u32 v24, v27, s36
	v_add3_u32 v15, v24, v15, v2
	s_mov_b64 s[6:7], -1
	s_and_b64 vcc, exec, s[54:55]
	s_cbranch_vccnz .LBB13_18
; %bb.16:                               ;   in Loop: Header=BB13_9 Depth=2
	s_and_b64 vcc, exec, s[6:7]
	s_cbranch_vccnz .LBB13_64
.LBB13_17:                              ;   in Loop: Header=BB13_9 Depth=2
	s_and_saveexec_b64 s[6:7], s[4:5]
	s_cbranch_execz .LBB13_8
	s_branch .LBB13_76
.LBB13_18:                              ;   in Loop: Header=BB13_9 Depth=2
	v_ashrrev_i32_e32 v33, 31, v14
	v_mul_lo_u32 v2, s41, v14
	v_mul_lo_u32 v26, s40, v33
	v_mad_u64_u32 v[24:25], s[6:7], s40, v14, 0
	v_add3_u32 v25, v25, v26, v2
	v_mov_b32_e32 v32, v14
	v_lshl_add_u64 v[30:31], v[24:25], 1, v[6:7]
	v_ashrrev_i32_e32 v25, 31, v20
	v_mov_b32_e32 v24, v20
	v_cmp_le_i64_e32 vcc, v[16:17], v[32:33]
	v_cmp_le_i64_e64 s[10:11], v[22:23], v[24:25]
	s_or_b64 s[6:7], vcc, s[10:11]
	s_nor_b64 s[8:9], s[6:7], s[2:3]
	v_mov_b32_e32 v39, 0
	v_mul_lo_u32 v50, s43, v24
	v_mul_lo_u32 v55, s42, v25
	v_mov_b32_e32 v53, 0
	s_and_saveexec_b64 s[6:7], s[8:9]
	s_cbranch_execz .LBB13_20
; %bb.19:                               ;   in Loop: Header=BB13_9 Depth=2
	v_mad_u64_u32 v[26:27], s[8:9], s42, v24, 0
	v_add3_u32 v27, v27, v55, v50
	v_lshl_add_u64 v[26:27], v[26:27], 1, v[30:31]
	global_load_ushort v53, v[26:27], off
.LBB13_20:                              ;   in Loop: Header=BB13_9 Depth=2
	s_or_b64 exec, exec, s[6:7]
	v_add_u32_e32 v26, s51, v20
	v_ashrrev_i32_e32 v27, 31, v26
	v_cmp_le_i64_e64 s[12:13], v[22:23], v[26:27]
	s_or_b64 s[6:7], vcc, s[12:13]
	s_nor_b64 s[8:9], s[6:7], s[2:3]
	v_mul_lo_u32 v56, s43, v26
	v_mul_lo_u32 v57, s42, v27
	s_and_saveexec_b64 s[6:7], s[8:9]
	s_cbranch_execz .LBB13_22
; %bb.21:                               ;   in Loop: Header=BB13_9 Depth=2
	v_mad_u64_u32 v[28:29], s[8:9], s42, v26, 0
	v_add3_u32 v29, v29, v57, v56
	v_lshl_add_u64 v[28:29], v[28:29], 1, v[30:31]
	global_load_ushort v39, v[28:29], off
.LBB13_22:                              ;   in Loop: Header=BB13_9 Depth=2
	s_or_b64 exec, exec, s[6:7]
	v_add_u32_e32 v28, s51, v26
	v_ashrrev_i32_e32 v29, 31, v28
	v_cmp_le_i64_e64 s[14:15], v[22:23], v[28:29]
	s_or_b64 s[6:7], vcc, s[14:15]
	s_nor_b64 s[8:9], s[6:7], s[2:3]
	v_mov_b32_e32 v38, 0
	v_mul_lo_u32 v58, s43, v28
	v_mul_lo_u32 v59, s42, v29
	v_mov_b32_e32 v54, 0
	s_and_saveexec_b64 s[6:7], s[8:9]
	s_cbranch_execz .LBB13_24
; %bb.23:                               ;   in Loop: Header=BB13_9 Depth=2
	v_mad_u64_u32 v[34:35], s[8:9], s42, v28, 0
	v_add3_u32 v35, v35, v59, v58
	v_lshl_add_u64 v[30:31], v[34:35], 1, v[30:31]
	global_load_ushort v54, v[30:31], off
.LBB13_24:                              ;   in Loop: Header=BB13_9 Depth=2
	s_or_b64 exec, exec, s[6:7]
	v_add_u32_e32 v34, s50, v14
	v_ashrrev_i32_e32 v35, 31, v34
	v_mul_lo_u32 v2, s40, v35
	v_mul_lo_u32 v36, s41, v34
	v_mad_u64_u32 v[30:31], s[6:7], s40, v34, 0
	v_cmp_le_i64_e64 s[8:9], v[16:17], v[34:35]
	v_add3_u32 v31, v31, v2, v36
	s_or_b64 s[6:7], s[8:9], s[10:11]
	v_lshl_add_u64 v[30:31], v[30:31], 1, v[6:7]
	s_nor_b64 s[16:17], s[6:7], s[2:3]
	s_and_saveexec_b64 s[6:7], s[16:17]
	s_cbranch_execz .LBB13_26
; %bb.25:                               ;   in Loop: Header=BB13_9 Depth=2
	v_mad_u64_u32 v[36:37], s[16:17], s42, v24, 0
	v_add3_u32 v37, v37, v55, v50
	v_lshl_add_u64 v[36:37], v[36:37], 1, v[30:31]
	global_load_ushort v38, v[36:37], off
.LBB13_26:                              ;   in Loop: Header=BB13_9 Depth=2
	s_or_b64 exec, exec, s[6:7]
	s_or_b64 s[6:7], s[8:9], s[12:13]
	s_nor_b64 s[16:17], s[6:7], s[2:3]
	v_mov_b32_e32 v49, 0
	v_mov_b32_e32 v52, 0
	s_and_saveexec_b64 s[6:7], s[16:17]
	s_cbranch_execz .LBB13_28
; %bb.27:                               ;   in Loop: Header=BB13_9 Depth=2
	v_mad_u64_u32 v[36:37], s[16:17], s42, v26, 0
	v_add3_u32 v37, v37, v57, v56
	v_lshl_add_u64 v[36:37], v[36:37], 1, v[30:31]
	global_load_ushort v52, v[36:37], off
.LBB13_28:                              ;   in Loop: Header=BB13_9 Depth=2
	s_or_b64 exec, exec, s[6:7]
	s_or_b64 s[6:7], s[8:9], s[14:15]
	s_nor_b64 s[16:17], s[6:7], s[2:3]
	s_and_saveexec_b64 s[6:7], s[16:17]
	s_cbranch_execz .LBB13_30
; %bb.29:                               ;   in Loop: Header=BB13_9 Depth=2
	v_mad_u64_u32 v[36:37], s[16:17], s42, v28, 0
	v_add3_u32 v37, v37, v59, v58
	v_lshl_add_u64 v[30:31], v[36:37], 1, v[30:31]
	global_load_ushort v49, v[30:31], off
.LBB13_30:                              ;   in Loop: Header=BB13_9 Depth=2
	s_or_b64 exec, exec, s[6:7]
	v_add_u32_e32 v30, s50, v34
	v_ashrrev_i32_e32 v31, 31, v30
	v_mad_u64_u32 v[36:37], s[6:7], s40, v30, 0
	v_mul_lo_u32 v2, s40, v31
	v_mul_lo_u32 v51, s41, v30
	v_cmp_le_i64_e64 s[6:7], v[16:17], v[30:31]
	v_add3_u32 v37, v37, v2, v51
	s_or_b64 s[16:17], s[6:7], s[10:11]
	v_lshl_add_u64 v[36:37], v[36:37], 1, v[6:7]
	s_nor_b64 s[68:69], s[16:17], s[2:3]
	v_mov_b32_e32 v2, 0
	v_mov_b32_e32 v51, 0
	s_and_saveexec_b64 s[16:17], s[68:69]
	s_cbranch_execz .LBB13_32
; %bb.31:                               ;   in Loop: Header=BB13_9 Depth=2
	v_mad_u64_u32 v[62:63], s[68:69], s42, v24, 0
	v_add3_u32 v63, v63, v55, v50
	v_lshl_add_u64 v[50:51], v[62:63], 1, v[36:37]
	global_load_ushort v51, v[50:51], off
.LBB13_32:                              ;   in Loop: Header=BB13_9 Depth=2
	s_or_b64 exec, exec, s[16:17]
	s_or_b64 s[16:17], s[6:7], s[12:13]
	s_nor_b64 s[68:69], s[16:17], s[2:3]
	s_and_saveexec_b64 s[16:17], s[68:69]
	s_cbranch_execz .LBB13_34
; %bb.33:                               ;   in Loop: Header=BB13_9 Depth=2
	v_mad_u64_u32 v[62:63], s[68:69], s42, v26, 0
	v_add3_u32 v63, v63, v57, v56
	v_lshl_add_u64 v[56:57], v[62:63], 1, v[36:37]
	global_load_ushort v2, v[56:57], off
.LBB13_34:                              ;   in Loop: Header=BB13_9 Depth=2
	s_or_b64 exec, exec, s[16:17]
	s_or_b64 s[16:17], s[6:7], s[14:15]
	s_nor_b64 s[68:69], s[16:17], s[2:3]
	v_mov_b32_e32 v50, 0
	s_and_saveexec_b64 s[16:17], s[68:69]
	s_cbranch_execz .LBB13_36
; %bb.35:                               ;   in Loop: Header=BB13_9 Depth=2
	v_mad_u64_u32 v[56:57], s[68:69], s42, v28, 0
	v_add3_u32 v57, v57, v59, v58
	v_lshl_add_u64 v[36:37], v[56:57], 1, v[36:37]
	global_load_ushort v50, v[36:37], off
.LBB13_36:                              ;   in Loop: Header=BB13_9 Depth=2
	s_or_b64 exec, exec, s[16:17]
	v_mul_lo_u32 v36, s25, v32
	v_mul_lo_u32 v37, s24, v33
	v_mad_u64_u32 v[32:33], s[16:17], s24, v32, 0
	s_or_b64 s[68:69], s[2:3], s[10:11]
	v_add3_u32 v33, v33, v37, v36
	s_nor_b64 s[10:11], vcc, s[68:69]
	s_and_saveexec_b64 s[70:71], s[10:11]
	s_cbranch_execz .LBB13_39
; %bb.37:                               ;   in Loop: Header=BB13_9 Depth=2
	ds_read_u16 v36, v44
	s_waitcnt vmcnt(0)
	v_lshlrev_b32_e32 v37, 16, v53
	v_cmp_u_f32_e64 s[16:17], v37, v37
	s_waitcnt lgkmcnt(0)
	v_lshlrev_b32_e32 v36, 16, v36
	v_cmp_gt_f32_e64 s[10:11], v37, v36
	s_or_b64 s[10:11], s[16:17], s[10:11]
	s_and_b64 exec, exec, s[10:11]
	s_cbranch_execz .LBB13_39
; %bb.38:                               ;   in Loop: Header=BB13_9 Depth=2
	v_lshl_add_u64 v[36:37], v[32:33], 0, v[24:25]
	ds_write_b16 v44, v53
	ds_write_b64 v45, v[36:37]
.LBB13_39:                              ;   in Loop: Header=BB13_9 Depth=2
	s_or_b64 exec, exec, s[70:71]
	s_or_b64 s[16:17], s[2:3], s[12:13]
	s_nor_b64 s[10:11], vcc, s[16:17]
	s_and_saveexec_b64 s[70:71], s[10:11]
	s_cbranch_execz .LBB13_42
; %bb.40:                               ;   in Loop: Header=BB13_9 Depth=2
	ds_read_u16 v36, v44
	s_waitcnt vmcnt(0)
	v_lshlrev_b32_e32 v37, 16, v39
	v_cmp_u_f32_e64 s[12:13], v37, v37
	s_waitcnt lgkmcnt(0)
	v_lshlrev_b32_e32 v36, 16, v36
	v_cmp_gt_f32_e64 s[10:11], v37, v36
	s_or_b64 s[10:11], s[12:13], s[10:11]
	s_and_b64 exec, exec, s[10:11]
	s_cbranch_execz .LBB13_42
; %bb.41:                               ;   in Loop: Header=BB13_9 Depth=2
	v_lshl_add_u64 v[36:37], v[32:33], 0, v[26:27]
	ds_write_b16 v44, v39
	ds_write_b64 v45, v[36:37]
.LBB13_42:                              ;   in Loop: Header=BB13_9 Depth=2
	s_or_b64 exec, exec, s[70:71]
	s_or_b64 s[12:13], s[2:3], s[14:15]
	s_nor_b64 s[10:11], vcc, s[12:13]
	s_and_saveexec_b64 s[14:15], s[10:11]
	s_cbranch_execz .LBB13_45
; %bb.43:                               ;   in Loop: Header=BB13_9 Depth=2
	ds_read_u16 v36, v44
	s_waitcnt vmcnt(0)
	v_lshlrev_b32_e32 v37, 16, v54
	v_cmp_u_f32_e64 s[10:11], v37, v37
	s_waitcnt lgkmcnt(0)
	v_lshlrev_b32_e32 v36, 16, v36
	v_cmp_gt_f32_e32 vcc, v37, v36
	s_or_b64 s[10:11], s[10:11], vcc
	s_and_b64 exec, exec, s[10:11]
	s_cbranch_execz .LBB13_45
; %bb.44:                               ;   in Loop: Header=BB13_9 Depth=2
	v_lshl_add_u64 v[32:33], v[32:33], 0, v[28:29]
	ds_write_b16 v44, v54
	ds_write_b64 v45, v[32:33]
.LBB13_45:                              ;   in Loop: Header=BB13_9 Depth=2
	s_or_b64 exec, exec, s[14:15]
	v_mul_lo_u32 v36, s25, v34
	v_mul_lo_u32 v35, s24, v35
	v_mad_u64_u32 v[32:33], s[10:11], s24, v34, 0
	v_add3_u32 v33, v33, v35, v36
	s_nor_b64 s[10:11], s[8:9], s[68:69]
	s_and_saveexec_b64 s[14:15], s[10:11]
	s_cbranch_execz .LBB13_48
; %bb.46:                               ;   in Loop: Header=BB13_9 Depth=2
	ds_read_u16 v34, v44
	s_waitcnt vmcnt(0)
	v_lshlrev_b32_e32 v35, 16, v38
	v_cmp_u_f32_e64 s[10:11], v35, v35
	s_waitcnt lgkmcnt(0)
	v_lshlrev_b32_e32 v34, 16, v34
	v_cmp_gt_f32_e32 vcc, v35, v34
	s_or_b64 s[10:11], s[10:11], vcc
	s_and_b64 exec, exec, s[10:11]
	s_cbranch_execz .LBB13_48
; %bb.47:                               ;   in Loop: Header=BB13_9 Depth=2
	v_lshl_add_u64 v[34:35], v[32:33], 0, v[24:25]
	ds_write_b16 v44, v38
	ds_write_b64 v45, v[34:35]
.LBB13_48:                              ;   in Loop: Header=BB13_9 Depth=2
	s_or_b64 exec, exec, s[14:15]
	s_nor_b64 s[10:11], s[8:9], s[16:17]
	s_and_saveexec_b64 s[14:15], s[10:11]
	s_cbranch_execz .LBB13_51
; %bb.49:                               ;   in Loop: Header=BB13_9 Depth=2
	ds_read_u16 v34, v44
	s_waitcnt vmcnt(0)
	v_lshlrev_b32_e32 v35, 16, v52
	v_cmp_u_f32_e64 s[10:11], v35, v35
	s_waitcnt lgkmcnt(0)
	v_lshlrev_b32_e32 v34, 16, v34
	v_cmp_gt_f32_e32 vcc, v35, v34
	s_or_b64 s[10:11], s[10:11], vcc
	s_and_b64 exec, exec, s[10:11]
	s_cbranch_execz .LBB13_51
; %bb.50:                               ;   in Loop: Header=BB13_9 Depth=2
	v_lshl_add_u64 v[34:35], v[32:33], 0, v[26:27]
	ds_write_b16 v44, v52
	ds_write_b64 v45, v[34:35]
.LBB13_51:                              ;   in Loop: Header=BB13_9 Depth=2
	s_or_b64 exec, exec, s[14:15]
	;; [unrolled: 20-line block ×3, first 2 shown]
	v_mul_lo_u32 v32, s25, v30
	v_mul_lo_u32 v33, s24, v31
	v_mad_u64_u32 v[30:31], s[8:9], s24, v30, 0
	v_add3_u32 v31, v31, v33, v32
	s_nor_b64 s[8:9], s[6:7], s[68:69]
	s_and_saveexec_b64 s[10:11], s[8:9]
	s_cbranch_execz .LBB13_57
; %bb.55:                               ;   in Loop: Header=BB13_9 Depth=2
	ds_read_u16 v32, v44
	s_waitcnt vmcnt(0)
	v_lshlrev_b32_e32 v33, 16, v51
	v_cmp_u_f32_e64 s[8:9], v33, v33
	s_waitcnt lgkmcnt(0)
	v_lshlrev_b32_e32 v32, 16, v32
	v_cmp_gt_f32_e32 vcc, v33, v32
	s_or_b64 s[8:9], s[8:9], vcc
	s_and_b64 exec, exec, s[8:9]
	s_cbranch_execz .LBB13_57
; %bb.56:                               ;   in Loop: Header=BB13_9 Depth=2
	v_lshl_add_u64 v[24:25], v[30:31], 0, v[24:25]
	ds_write_b16 v44, v51
	ds_write_b64 v45, v[24:25]
.LBB13_57:                              ;   in Loop: Header=BB13_9 Depth=2
	s_or_b64 exec, exec, s[10:11]
	s_nor_b64 s[8:9], s[6:7], s[16:17]
	s_and_saveexec_b64 s[10:11], s[8:9]
	s_cbranch_execz .LBB13_60
; %bb.58:                               ;   in Loop: Header=BB13_9 Depth=2
	ds_read_u16 v24, v44
	s_waitcnt vmcnt(0)
	v_lshlrev_b32_e32 v25, 16, v2
	v_cmp_u_f32_e64 s[8:9], v25, v25
	s_waitcnt lgkmcnt(0)
	v_lshlrev_b32_e32 v24, 16, v24
	v_cmp_gt_f32_e32 vcc, v25, v24
	s_or_b64 s[8:9], s[8:9], vcc
	s_and_b64 exec, exec, s[8:9]
	s_cbranch_execz .LBB13_60
; %bb.59:                               ;   in Loop: Header=BB13_9 Depth=2
	v_lshl_add_u64 v[24:25], v[30:31], 0, v[26:27]
	ds_write_b16 v44, v2
	ds_write_b64 v45, v[24:25]
.LBB13_60:                              ;   in Loop: Header=BB13_9 Depth=2
	s_or_b64 exec, exec, s[10:11]
	s_nor_b64 s[6:7], s[6:7], s[12:13]
	s_and_saveexec_b64 s[8:9], s[6:7]
	s_cbranch_execz .LBB13_63
; %bb.61:                               ;   in Loop: Header=BB13_9 Depth=2
	s_waitcnt vmcnt(0)
	ds_read_u16 v2, v44
	v_lshlrev_b32_e32 v24, 16, v50
	v_cmp_u_f32_e64 s[6:7], v24, v24
	s_waitcnt lgkmcnt(0)
	v_lshlrev_b32_e32 v2, 16, v2
	v_cmp_gt_f32_e32 vcc, v24, v2
	s_or_b64 s[6:7], s[6:7], vcc
	s_and_b64 exec, exec, s[6:7]
	s_cbranch_execz .LBB13_63
; %bb.62:                               ;   in Loop: Header=BB13_9 Depth=2
	v_lshl_add_u64 v[24:25], v[30:31], 0, v[28:29]
	ds_write_b16 v44, v50
	ds_write_b64 v45, v[24:25]
.LBB13_63:                              ;   in Loop: Header=BB13_9 Depth=2
	s_or_b64 exec, exec, s[8:9]
	s_branch .LBB13_17
.LBB13_64:                              ;   in Loop: Header=BB13_9 Depth=2
	v_cmp_lt_i64_e32 vcc, v[14:15], v[16:17]
	s_and_saveexec_b64 s[10:11], vcc
	s_cbranch_execz .LBB13_75
; %bb.65:                               ;   in Loop: Header=BB13_9 Depth=2
	v_cmp_lt_i64_e32 vcc, v[20:21], v[22:23]
	s_mov_b64 s[12:13], 0
	v_mov_b64_e32 v[24:25], v[14:15]
	s_branch .LBB13_67
.LBB13_66:                              ;   in Loop: Header=BB13_67 Depth=3
	s_or_b64 exec, exec, s[14:15]
	v_lshl_add_u64 v[24:25], v[24:25], 0, s[36:37]
	v_cmp_ge_i64_e64 s[6:7], v[24:25], v[16:17]
	s_or_b64 s[12:13], s[6:7], s[12:13]
	s_andn2_b64 exec, exec, s[12:13]
	s_cbranch_execz .LBB13_75
.LBB13_67:                              ;   Parent Loop BB13_6 Depth=1
                                        ;     Parent Loop BB13_9 Depth=2
                                        ; =>    This Loop Header: Depth=3
                                        ;         Child Loop BB13_70 Depth 4
                                        ;           Child Loop BB13_73 Depth 5
	s_and_saveexec_b64 s[14:15], vcc
	s_cbranch_execz .LBB13_66
; %bb.68:                               ;   in Loop: Header=BB13_67 Depth=3
	s_waitcnt vmcnt(0)
	v_mul_lo_u32 v2, v25, s40
	v_mul_lo_u32 v28, v24, s41
	v_mad_u64_u32 v[26:27], s[6:7], v24, s40, 0
	v_add3_u32 v27, v27, v28, v2
	v_mul_lo_u32 v2, v25, s24
	v_mul_lo_u32 v30, v24, s25
	v_mad_u64_u32 v[28:29], s[6:7], v24, s24, 0
	v_lshl_add_u64 v[26:27], v[26:27], 1, s[28:29]
	v_add3_u32 v29, v29, v30, v2
	s_mov_b64 s[16:17], 0
	v_mov_b64_e32 v[30:31], v[20:21]
	s_branch .LBB13_70
.LBB13_69:                              ;   in Loop: Header=BB13_70 Depth=4
	s_or_b64 exec, exec, s[68:69]
	v_lshl_add_u64 v[30:31], v[30:31], 0, s[52:53]
	v_cmp_ge_i64_e64 s[6:7], v[30:31], v[22:23]
	s_or_b64 s[16:17], s[6:7], s[16:17]
	s_andn2_b64 exec, exec, s[16:17]
	s_cbranch_execz .LBB13_66
.LBB13_70:                              ;   Parent Loop BB13_6 Depth=1
                                        ;     Parent Loop BB13_9 Depth=2
                                        ;       Parent Loop BB13_67 Depth=3
                                        ; =>      This Loop Header: Depth=4
                                        ;           Child Loop BB13_73 Depth 5
	s_and_saveexec_b64 s[68:69], s[4:5]
	s_cbranch_execz .LBB13_69
; %bb.71:                               ;   in Loop: Header=BB13_70 Depth=4
	v_mul_lo_u32 v2, v31, s42
	v_mul_lo_u32 v34, v30, s43
	v_mad_u64_u32 v[32:33], s[6:7], v30, s42, 0
	v_add3_u32 v33, v33, v34, v2
	v_lshl_add_u64 v[32:33], v[32:33], 1, v[26:27]
	v_lshl_add_u64 v[34:35], v[30:31], 0, v[28:29]
	s_mov_b64 s[70:71], 0
	v_mov_b32_e32 v2, v47
	v_mov_b32_e32 v49, v46
	v_mov_b64_e32 v[36:37], v[4:5]
	v_mov_b64_e32 v[38:39], v[0:1]
	s_branch .LBB13_73
.LBB13_72:                              ;   in Loop: Header=BB13_73 Depth=5
	s_or_b64 exec, exec, s[6:7]
	v_lshl_add_u64 v[38:39], v[38:39], 0, s[44:45]
	v_cmp_le_i64_e64 s[6:7], s[20:21], v[38:39]
	v_lshl_add_u64 v[36:37], v[36:37], 0, s[38:39]
	v_add_u32_e32 v49, s79, v49
	s_or_b64 s[70:71], s[6:7], s[70:71]
	v_add_u32_e32 v2, s80, v2
	s_andn2_b64 exec, exec, s[70:71]
	s_cbranch_execz .LBB13_69
.LBB13_73:                              ;   Parent Loop BB13_6 Depth=1
                                        ;     Parent Loop BB13_9 Depth=2
                                        ;       Parent Loop BB13_67 Depth=3
                                        ;         Parent Loop BB13_70 Depth=4
                                        ; =>        This Inner Loop Header: Depth=5
	v_lshl_add_u64 v[50:51], v[36:37], 1, v[32:33]
	global_load_ushort v50, v[50:51], off
	ds_read_u16 v51, v49
	s_waitcnt lgkmcnt(0)
	v_lshlrev_b32_e32 v51, 16, v51
	s_waitcnt vmcnt(0)
	v_lshlrev_b32_e32 v52, 16, v50
	v_cmp_gt_f32_e64 s[6:7], v52, v51
	v_cmp_u_f32_e64 s[8:9], v52, v52
	s_or_b64 s[8:9], s[8:9], s[6:7]
	s_and_saveexec_b64 s[6:7], s[8:9]
	s_cbranch_execz .LBB13_72
; %bb.74:                               ;   in Loop: Header=BB13_73 Depth=5
	ds_write_b16 v49, v50
	ds_write_b64 v2, v[34:35]
	s_branch .LBB13_72
.LBB13_75:                              ;   in Loop: Header=BB13_9 Depth=2
	s_or_b64 exec, exec, s[10:11]
	s_and_saveexec_b64 s[6:7], s[4:5]
	s_cbranch_execz .LBB13_8
.LBB13_76:                              ;   in Loop: Header=BB13_9 Depth=2
	v_lshl_add_u64 v[22:23], v[12:13], 0, v[18:19]
	v_lshl_add_u64 v[20:21], v[22:23], 3, s[26:27]
	s_waitcnt vmcnt(0)
	v_mul_lo_u32 v2, s20, v21
	v_mul_lo_u32 v19, s21, v20
	v_mad_u64_u32 v[20:21], s[8:9], s20, v20, v[8:9]
	v_lshl_add_u64 v[22:23], v[22:23], 1, s[60:61]
	v_add3_u32 v21, v19, v21, v2
	v_mul_lo_u32 v2, s20, v23
	v_mul_lo_u32 v19, s21, v22
	v_mad_u64_u32 v[22:23], s[8:9], s20, v22, v[10:11]
	v_add3_u32 v23, v19, v23, v2
	s_mov_b64 s[8:9], 0
	v_mov_b32_e32 v2, v47
	v_mov_b32_e32 v19, v46
	v_mov_b64_e32 v[24:25], v[0:1]
.LBB13_77:                              ;   Parent Loop BB13_6 Depth=1
                                        ;     Parent Loop BB13_9 Depth=2
                                        ; =>    This Inner Loop Header: Depth=3
	ds_read_u16 v28, v19
	ds_read_b64 v[26:27], v2
	v_lshl_add_u64 v[24:25], v[24:25], 0, s[44:45]
	v_cmp_le_i64_e32 vcc, s[20:21], v[24:25]
	ds_write_b16 v19, v48
	ds_write_b64 v2, v[60:61]
	v_add_u32_e32 v19, s79, v19
	v_add_u32_e32 v2, s80, v2
	s_or_b64 s[8:9], vcc, s[8:9]
	s_waitcnt lgkmcnt(3)
	global_store_short v[22:23], v28, off
	s_waitcnt lgkmcnt(2)
	global_store_dwordx2 v[20:21], v[26:27], off
	v_lshl_add_u64 v[20:21], v[20:21], 0, s[58:59]
	v_lshl_add_u64 v[22:23], v[22:23], 0, s[62:63]
	s_andn2_b64 exec, exec, s[8:9]
	s_cbranch_execnz .LBB13_77
	s_branch .LBB13_8
.LBB13_78:
	s_endpgm
	.section	.rodata,"a",@progbits
	.p2align	6, 0x0
	.amdhsa_kernel _ZN2at6native12_GLOBAL__N_121max_pool_forward_nhwcIN3c108BFloat16ElEEvPKT_iT0_S8_S8_S8_S8_iiiiiiiiS8_S8_S8_S8_iiPS5_Pl
		.amdhsa_group_segment_fixed_size 0
		.amdhsa_private_segment_fixed_size 0
		.amdhsa_kernarg_size 400
		.amdhsa_user_sgpr_count 2
		.amdhsa_user_sgpr_dispatch_ptr 0
		.amdhsa_user_sgpr_queue_ptr 0
		.amdhsa_user_sgpr_kernarg_segment_ptr 1
		.amdhsa_user_sgpr_dispatch_id 0
		.amdhsa_user_sgpr_kernarg_preload_length 0
		.amdhsa_user_sgpr_kernarg_preload_offset 0
		.amdhsa_user_sgpr_private_segment_size 0
		.amdhsa_uses_dynamic_stack 0
		.amdhsa_enable_private_segment 0
		.amdhsa_system_sgpr_workgroup_id_x 1
		.amdhsa_system_sgpr_workgroup_id_y 1
		.amdhsa_system_sgpr_workgroup_id_z 1
		.amdhsa_system_sgpr_workgroup_info 0
		.amdhsa_system_vgpr_workitem_id 2
		.amdhsa_next_free_vgpr 64
		.amdhsa_next_free_sgpr 81
		.amdhsa_accum_offset 64
		.amdhsa_reserve_vcc 1
		.amdhsa_float_round_mode_32 0
		.amdhsa_float_round_mode_16_64 0
		.amdhsa_float_denorm_mode_32 3
		.amdhsa_float_denorm_mode_16_64 3
		.amdhsa_dx10_clamp 1
		.amdhsa_ieee_mode 1
		.amdhsa_fp16_overflow 0
		.amdhsa_tg_split 0
		.amdhsa_exception_fp_ieee_invalid_op 0
		.amdhsa_exception_fp_denorm_src 0
		.amdhsa_exception_fp_ieee_div_zero 0
		.amdhsa_exception_fp_ieee_overflow 0
		.amdhsa_exception_fp_ieee_underflow 0
		.amdhsa_exception_fp_ieee_inexact 0
		.amdhsa_exception_int_div_zero 0
	.end_amdhsa_kernel
	.section	.text._ZN2at6native12_GLOBAL__N_121max_pool_forward_nhwcIN3c108BFloat16ElEEvPKT_iT0_S8_S8_S8_S8_iiiiiiiiS8_S8_S8_S8_iiPS5_Pl,"axG",@progbits,_ZN2at6native12_GLOBAL__N_121max_pool_forward_nhwcIN3c108BFloat16ElEEvPKT_iT0_S8_S8_S8_S8_iiiiiiiiS8_S8_S8_S8_iiPS5_Pl,comdat
.Lfunc_end13:
	.size	_ZN2at6native12_GLOBAL__N_121max_pool_forward_nhwcIN3c108BFloat16ElEEvPKT_iT0_S8_S8_S8_S8_iiiiiiiiS8_S8_S8_S8_iiPS5_Pl, .Lfunc_end13-_ZN2at6native12_GLOBAL__N_121max_pool_forward_nhwcIN3c108BFloat16ElEEvPKT_iT0_S8_S8_S8_S8_iiiiiiiiS8_S8_S8_S8_iiPS5_Pl
                                        ; -- End function
	.set _ZN2at6native12_GLOBAL__N_121max_pool_forward_nhwcIN3c108BFloat16ElEEvPKT_iT0_S8_S8_S8_S8_iiiiiiiiS8_S8_S8_S8_iiPS5_Pl.num_vgpr, 64
	.set _ZN2at6native12_GLOBAL__N_121max_pool_forward_nhwcIN3c108BFloat16ElEEvPKT_iT0_S8_S8_S8_S8_iiiiiiiiS8_S8_S8_S8_iiPS5_Pl.num_agpr, 0
	.set _ZN2at6native12_GLOBAL__N_121max_pool_forward_nhwcIN3c108BFloat16ElEEvPKT_iT0_S8_S8_S8_S8_iiiiiiiiS8_S8_S8_S8_iiPS5_Pl.numbered_sgpr, 81
	.set _ZN2at6native12_GLOBAL__N_121max_pool_forward_nhwcIN3c108BFloat16ElEEvPKT_iT0_S8_S8_S8_S8_iiiiiiiiS8_S8_S8_S8_iiPS5_Pl.num_named_barrier, 0
	.set _ZN2at6native12_GLOBAL__N_121max_pool_forward_nhwcIN3c108BFloat16ElEEvPKT_iT0_S8_S8_S8_S8_iiiiiiiiS8_S8_S8_S8_iiPS5_Pl.private_seg_size, 0
	.set _ZN2at6native12_GLOBAL__N_121max_pool_forward_nhwcIN3c108BFloat16ElEEvPKT_iT0_S8_S8_S8_S8_iiiiiiiiS8_S8_S8_S8_iiPS5_Pl.uses_vcc, 1
	.set _ZN2at6native12_GLOBAL__N_121max_pool_forward_nhwcIN3c108BFloat16ElEEvPKT_iT0_S8_S8_S8_S8_iiiiiiiiS8_S8_S8_S8_iiPS5_Pl.uses_flat_scratch, 0
	.set _ZN2at6native12_GLOBAL__N_121max_pool_forward_nhwcIN3c108BFloat16ElEEvPKT_iT0_S8_S8_S8_S8_iiiiiiiiS8_S8_S8_S8_iiPS5_Pl.has_dyn_sized_stack, 0
	.set _ZN2at6native12_GLOBAL__N_121max_pool_forward_nhwcIN3c108BFloat16ElEEvPKT_iT0_S8_S8_S8_S8_iiiiiiiiS8_S8_S8_S8_iiPS5_Pl.has_recursion, 0
	.set _ZN2at6native12_GLOBAL__N_121max_pool_forward_nhwcIN3c108BFloat16ElEEvPKT_iT0_S8_S8_S8_S8_iiiiiiiiS8_S8_S8_S8_iiPS5_Pl.has_indirect_call, 0
	.section	.AMDGPU.csdata,"",@progbits
; Kernel info:
; codeLenInByte = 4548
; TotalNumSgprs: 87
; NumVgprs: 64
; NumAgprs: 0
; TotalNumVgprs: 64
; ScratchSize: 0
; MemoryBound: 0
; FloatMode: 240
; IeeeMode: 1
; LDSByteSize: 0 bytes/workgroup (compile time only)
; SGPRBlocks: 10
; VGPRBlocks: 7
; NumSGPRsForWavesPerEU: 87
; NumVGPRsForWavesPerEU: 64
; AccumOffset: 64
; Occupancy: 8
; WaveLimiterHint : 1
; COMPUTE_PGM_RSRC2:SCRATCH_EN: 0
; COMPUTE_PGM_RSRC2:USER_SGPR: 2
; COMPUTE_PGM_RSRC2:TRAP_HANDLER: 0
; COMPUTE_PGM_RSRC2:TGID_X_EN: 1
; COMPUTE_PGM_RSRC2:TGID_Y_EN: 1
; COMPUTE_PGM_RSRC2:TGID_Z_EN: 1
; COMPUTE_PGM_RSRC2:TIDIG_COMP_CNT: 2
; COMPUTE_PGM_RSRC3_GFX90A:ACCUM_OFFSET: 15
; COMPUTE_PGM_RSRC3_GFX90A:TG_SPLIT: 0
	.section	.text._ZN2at6native12_GLOBAL__N_121max_pool_forward_nchwIN3c108BFloat16EiEEvT0_PKT_llliiiiiiiiiiPS6_Pl,"axG",@progbits,_ZN2at6native12_GLOBAL__N_121max_pool_forward_nchwIN3c108BFloat16EiEEvT0_PKT_llliiiiiiiiiiPS6_Pl,comdat
	.globl	_ZN2at6native12_GLOBAL__N_121max_pool_forward_nchwIN3c108BFloat16EiEEvT0_PKT_llliiiiiiiiiiPS6_Pl ; -- Begin function _ZN2at6native12_GLOBAL__N_121max_pool_forward_nchwIN3c108BFloat16EiEEvT0_PKT_llliiiiiiiiiiPS6_Pl
	.p2align	8
	.type	_ZN2at6native12_GLOBAL__N_121max_pool_forward_nchwIN3c108BFloat16EiEEvT0_PKT_llliiiiiiiiiiPS6_Pl,@function
_ZN2at6native12_GLOBAL__N_121max_pool_forward_nchwIN3c108BFloat16EiEEvT0_PKT_llliiiiiiiiiiPS6_Pl: ; @_ZN2at6native12_GLOBAL__N_121max_pool_forward_nchwIN3c108BFloat16EiEEvT0_PKT_llliiiiiiiiiiPS6_Pl
; %bb.0:
	s_load_dword s6, s[0:1], 0x0
	s_load_dword s3, s[0:1], 0x6c
	v_mov_b32_e32 v1, 0
	v_mov_b32_e32 v2, s2
	s_waitcnt lgkmcnt(0)
	s_ashr_i32 s7, s6, 31
	s_add_u32 s4, s0, 0x60
	s_addc_u32 s5, s1, 0
	s_and_b32 s3, s3, 0xffff
	v_mad_u64_u32 v[0:1], s[8:9], s3, v2, v[0:1]
	v_cmp_gt_i64_e32 vcc, s[6:7], v[0:1]
	s_and_saveexec_b64 s[8:9], vcc
	s_cbranch_execz .LBB14_11
; %bb.1:
	s_load_dwordx8 s[8:15], s[0:1], 0x28
	s_load_dwordx2 s[24:25], s[0:1], 0x48
	s_load_dwordx2 s[26:27], s[0:1], 0x8
	s_load_dwordx4 s[16:19], s[0:1], 0x18
	s_load_dwordx4 s[20:23], s[0:1], 0x50
	s_load_dword s2, s[4:5], 0x0
	s_waitcnt lgkmcnt(0)
	s_abs_i32 s48, s9
	v_cvt_f32_u32_e32 v2, s48
	s_abs_i32 s52, s8
	v_cvt_f32_u32_e32 v3, s52
	s_add_i32 s0, s10, -1
	v_rcp_iflag_f32_e32 v2, v2
	s_mul_i32 s33, s24, s0
	s_add_i32 s0, s11, -1
	v_rcp_iflag_f32_e32 v3, v3
	v_mul_f32_e32 v2, 0x4f7ffffe, v2
	v_cvt_u32_f32_e32 v2, v2
	s_mul_i32 s49, s25, s0
	s_sub_i32 s0, 0, s48
	s_max_u32 s50, s24, 1
	v_mul_lo_u32 v4, s0, v2
	v_mul_hi_u32 v4, v2, v4
	v_add_u32_e32 v10, v2, v4
	v_mul_f32_e32 v2, 0x4f7ffffe, v3
	v_cvt_f32_u32_e32 v3, s50
	s_max_u32 s51, s25, 1
	v_cvt_f32_u32_e32 v5, s51
	v_cvt_u32_f32_e32 v2, v2
	v_rcp_iflag_f32_e32 v3, v3
	s_sub_i32 s0, 0, s52
	v_rcp_iflag_f32_e32 v5, v5
	v_mul_lo_u32 v4, s0, v2
	v_mul_f32_e32 v3, 0x4f7ffffe, v3
	v_mul_hi_u32 v4, v2, v4
	v_cvt_u32_f32_e32 v3, v3
	v_add_u32_e32 v11, v2, v4
	v_mul_f32_e32 v4, 0x4f7ffffe, v5
	v_cvt_u32_f32_e32 v4, v4
	s_sub_i32 s0, 0, s50
	v_mul_lo_u32 v2, s0, v3
	v_mul_hi_u32 v2, v3, v2
	s_sub_i32 s0, 0, s51
	v_add_u32_e32 v12, v3, v2
	v_mul_lo_u32 v2, s0, v4
	s_mul_i32 s0, s18, s17
	s_mul_hi_u32 s1, s18, s16
	s_add_i32 s0, s1, s0
	s_mul_i32 s1, s19, s16
	s_add_i32 s1, s0, s1
	s_mul_i32 s0, s18, s16
	s_lshl_b64 s[28:29], s[0:1], 1
	s_ashr_i32 s0, s24, 31
	s_mul_hi_u32 s1, s18, s24
	s_mul_i32 s0, s18, s0
	s_add_i32 s0, s1, s0
	s_mul_i32 s1, s19, s24
	v_mul_hi_u32 v2, v4, v2
	s_add_i32 s31, s0, s1
	s_mul_i32 s30, s24, s18
	s_ashr_i32 s1, s25, 31
	s_mov_b32 s0, s25
	s_add_i32 s33, s33, 1
	s_add_i32 s49, s49, 1
	s_mul_i32 s10, s2, s3
	s_mov_b32 s11, 0
	s_ashr_i32 s53, s9, 31
	s_ashr_i32 s54, s8, 31
	v_add_u32_e32 v13, v4, v2
	s_sub_i32 s17, 0, s15
	s_lshl_b64 s[34:35], s[30:31], 1
	s_lshl_b64 s[36:37], s[0:1], 1
	s_mov_b64 s[38:39], 0
	s_branch .LBB14_4
.LBB14_2:                               ;   in Loop: Header=BB14_4 Depth=1
	s_or_b64 exec, exec, s[42:43]
.LBB14_3:                               ;   in Loop: Header=BB14_4 Depth=1
	s_or_b64 exec, exec, s[40:41]
	v_lshl_add_u64 v[2:3], v[0:1], 1, s[20:21]
	global_store_short v[2:3], v16, off
	v_lshl_add_u64 v[2:3], v[0:1], 3, s[22:23]
	v_lshl_add_u64 v[0:1], v[0:1], 0, s[10:11]
	v_cmp_le_i64_e32 vcc, s[6:7], v[0:1]
	v_ashrrev_i32_e32 v5, 31, v4
	s_or_b64 s[38:39], vcc, s[38:39]
	global_store_dwordx2 v[2:3], v[4:5], off
	s_andn2_b64 exec, exec, s[38:39]
	s_cbranch_execz .LBB14_11
.LBB14_4:                               ; =>This Loop Header: Depth=1
                                        ;     Child Loop BB14_7 Depth 2
                                        ;       Child Loop BB14_9 Depth 3
	v_sub_u32_e32 v3, 0, v0
	v_max_i32_e32 v3, v0, v3
	v_mul_hi_u32 v4, v3, v10
	v_mul_lo_u32 v5, v4, s48
	v_sub_u32_e32 v3, v3, v5
	v_add_u32_e32 v5, 1, v4
	v_cmp_le_u32_e32 vcc, s48, v3
	v_ashrrev_i32_e32 v2, 31, v0
	v_xor_b32_e32 v2, s53, v2
	v_cndmask_b32_e32 v4, v4, v5, vcc
	v_subrev_u32_e32 v5, s48, v3
	v_cndmask_b32_e32 v3, v3, v5, vcc
	v_add_u32_e32 v5, 1, v4
	v_cmp_le_u32_e32 vcc, s48, v3
	v_mov_b32_e32 v16, 0xffffff80
	s_nop 0
	v_cndmask_b32_e32 v3, v4, v5, vcc
	v_xor_b32_e32 v3, v3, v2
	v_sub_u32_e32 v2, v3, v2
	v_sub_u32_e32 v5, 0, v2
	v_max_i32_e32 v5, v2, v5
	v_mul_hi_u32 v6, v5, v11
	v_mul_lo_u32 v7, v6, s52
	v_sub_u32_e32 v5, v5, v7
	v_add_u32_e32 v7, 1, v6
	v_cmp_le_u32_e32 vcc, s52, v5
	v_ashrrev_i32_e32 v4, 31, v2
	v_xor_b32_e32 v4, s54, v4
	v_cndmask_b32_e32 v6, v6, v7, vcc
	v_subrev_u32_e32 v7, s52, v5
	v_cndmask_b32_e32 v5, v5, v7, vcc
	v_add_u32_e32 v7, 1, v6
	v_cmp_le_u32_e32 vcc, s52, v5
	v_mul_lo_u32 v3, v2, s9
	v_sub_u32_e32 v3, v0, v3
	v_cndmask_b32_e32 v5, v6, v7, vcc
	v_xor_b32_e32 v5, v5, v4
	v_sub_u32_e32 v6, v5, v4
	v_mul_lo_u32 v4, v6, s8
	v_sub_u32_e32 v2, v2, v4
	v_mul_lo_u32 v4, v2, s12
	v_subrev_u32_e32 v2, s14, v4
	v_mul_lo_u32 v7, v3, s13
	v_max_i32_e32 v3, 0, v2
	v_add_u32_e32 v3, s14, v3
	v_cmp_ne_u32_e32 vcc, v3, v4
	v_subrev_u32_e32 v8, s15, v7
	v_add_u32_e32 v5, s33, v2
	v_cndmask_b32_e64 v9, 0, 1, vcc
	v_add_u32_e32 v4, v4, v9
	v_sub_u32_e32 v3, v3, v4
	v_mul_hi_u32 v4, v3, v12
	v_mul_lo_u32 v9, v4, s50
	v_sub_u32_e32 v3, v3, v9
	v_add_u32_e32 v9, 1, v4
	v_cmp_le_u32_e64 s[0:1], s50, v3
	s_nop 1
	v_cndmask_b32_e64 v4, v4, v9, s[0:1]
	v_subrev_u32_e32 v9, s50, v3
	v_cndmask_b32_e64 v3, v3, v9, s[0:1]
	v_add_u32_e32 v9, 1, v4
	v_cmp_le_u32_e64 s[0:1], s50, v3
	s_nop 1
	v_cndmask_b32_e64 v3, v4, v9, s[0:1]
	v_addc_co_u32_e32 v3, vcc, 0, v3, vcc
	v_mad_u64_u32 v[2:3], s[0:1], s24, v3, v[2:3]
	v_max_i32_e32 v3, 0, v8
	v_add_u32_e32 v3, s15, v3
	v_cmp_ne_u32_e32 vcc, v3, v7
	v_mul_lo_u32 v14, v2, s18
	s_nop 0
	v_cndmask_b32_e64 v4, 0, 1, vcc
	v_add_u32_e32 v4, v7, v4
	v_sub_u32_e32 v3, v3, v4
	v_mul_hi_u32 v4, v3, v13
	v_mul_lo_u32 v9, v4, s51
	v_sub_u32_e32 v3, v3, v9
	v_add_u32_e32 v9, 1, v4
	v_cmp_le_u32_e64 s[0:1], s51, v3
	s_nop 1
	v_cndmask_b32_e64 v4, v4, v9, s[0:1]
	v_subrev_u32_e32 v9, s51, v3
	v_cndmask_b32_e64 v3, v3, v9, s[0:1]
	v_add_u32_e32 v9, 1, v4
	v_cmp_le_u32_e64 s[0:1], s51, v3
	s_nop 1
	v_cndmask_b32_e64 v3, v4, v9, s[0:1]
	v_addc_co_u32_e32 v3, vcc, 0, v3, vcc
	v_mul_lo_u32 v9, s25, v3
	v_min_i32_e32 v3, s16, v5
	v_add_u32_e32 v5, v8, v9
	v_add_u32_e32 v4, v5, v14
	v_cmp_lt_i32_e32 vcc, v2, v3
	s_and_saveexec_b64 s[40:41], vcc
	s_cbranch_execz .LBB14_3
; %bb.5:                                ;   in Loop: Header=BB14_4 Depth=1
	v_add_u32_e32 v8, s49, v8
	v_min_i32_e32 v15, s18, v8
	v_add3_u32 v8, s17, v9, v7
	v_ashrrev_i32_e32 v17, 31, v2
	v_ashrrev_i32_e32 v9, 31, v8
	v_mad_u64_u32 v[8:9], s[0:1], s18, v2, v[8:9]
	v_mul_lo_u32 v7, s19, v2
	v_mul_lo_u32 v17, s18, v17
	v_add3_u32 v9, v7, v9, v17
	v_ashrrev_i32_e32 v16, 31, v6
	v_lshlrev_b64 v[8:9], 1, v[8:9]
	v_mad_u64_u32 v[8:9], s[0:1], s28, v6, v[8:9]
	v_mul_lo_u32 v6, s29, v6
	v_mul_lo_u32 v7, s28, v16
	v_add3_u32 v9, v6, v9, v7
	v_cmp_lt_i32_e32 vcc, v5, v15
	v_lshl_add_u64 v[6:7], s[26:27], 0, v[8:9]
	v_mov_b32_e32 v16, 0xffffff80
	s_mov_b64 s[42:43], 0
	s_branch .LBB14_7
.LBB14_6:                               ;   in Loop: Header=BB14_7 Depth=2
	s_or_b64 exec, exec, s[44:45]
	v_add_u32_e32 v2, s24, v2
	v_cmp_ge_i32_e64 s[0:1], v2, v3
	v_lshl_add_u64 v[6:7], v[6:7], 0, s[34:35]
	s_or_b64 s[42:43], s[0:1], s[42:43]
	v_add_u32_e32 v14, s30, v14
	s_andn2_b64 exec, exec, s[42:43]
	s_cbranch_execz .LBB14_2
.LBB14_7:                               ;   Parent Loop BB14_4 Depth=1
                                        ; =>  This Loop Header: Depth=2
                                        ;       Child Loop BB14_9 Depth 3
	s_and_saveexec_b64 s[44:45], vcc
	s_cbranch_execz .LBB14_6
; %bb.8:                                ;   in Loop: Header=BB14_7 Depth=2
	s_mov_b64 s[46:47], 0
	v_mov_b64_e32 v[8:9], v[6:7]
	v_mov_b32_e32 v17, v5
.LBB14_9:                               ;   Parent Loop BB14_4 Depth=1
                                        ;     Parent Loop BB14_7 Depth=2
                                        ; =>    This Inner Loop Header: Depth=3
	global_load_ushort v18, v[8:9], off
	v_lshlrev_b32_e32 v19, 16, v16
	v_add_u32_e32 v20, v14, v17
	v_add_u32_e32 v17, s25, v17
	v_cmp_ge_i32_e64 s[0:1], v17, v15
	v_lshl_add_u64 v[8:9], v[8:9], 0, s[36:37]
	s_waitcnt vmcnt(0)
	v_lshlrev_b32_e32 v21, 16, v18
	v_cmp_gt_f32_e64 s[2:3], v21, v19
	v_cmp_u_f32_e64 s[4:5], v21, v21
	s_or_b64 s[2:3], s[2:3], s[4:5]
	v_cndmask_b32_e64 v16, v16, v18, s[2:3]
	s_or_b64 s[46:47], s[0:1], s[46:47]
	v_cndmask_b32_e64 v4, v4, v20, s[2:3]
	s_andn2_b64 exec, exec, s[46:47]
	s_cbranch_execnz .LBB14_9
; %bb.10:                               ;   in Loop: Header=BB14_7 Depth=2
	s_or_b64 exec, exec, s[46:47]
	s_branch .LBB14_6
.LBB14_11:
	s_endpgm
	.section	.rodata,"a",@progbits
	.p2align	6, 0x0
	.amdhsa_kernel _ZN2at6native12_GLOBAL__N_121max_pool_forward_nchwIN3c108BFloat16EiEEvT0_PKT_llliiiiiiiiiiPS6_Pl
		.amdhsa_group_segment_fixed_size 0
		.amdhsa_private_segment_fixed_size 0
		.amdhsa_kernarg_size 352
		.amdhsa_user_sgpr_count 2
		.amdhsa_user_sgpr_dispatch_ptr 0
		.amdhsa_user_sgpr_queue_ptr 0
		.amdhsa_user_sgpr_kernarg_segment_ptr 1
		.amdhsa_user_sgpr_dispatch_id 0
		.amdhsa_user_sgpr_kernarg_preload_length 0
		.amdhsa_user_sgpr_kernarg_preload_offset 0
		.amdhsa_user_sgpr_private_segment_size 0
		.amdhsa_uses_dynamic_stack 0
		.amdhsa_enable_private_segment 0
		.amdhsa_system_sgpr_workgroup_id_x 1
		.amdhsa_system_sgpr_workgroup_id_y 0
		.amdhsa_system_sgpr_workgroup_id_z 0
		.amdhsa_system_sgpr_workgroup_info 0
		.amdhsa_system_vgpr_workitem_id 0
		.amdhsa_next_free_vgpr 22
		.amdhsa_next_free_sgpr 55
		.amdhsa_accum_offset 24
		.amdhsa_reserve_vcc 1
		.amdhsa_float_round_mode_32 0
		.amdhsa_float_round_mode_16_64 0
		.amdhsa_float_denorm_mode_32 3
		.amdhsa_float_denorm_mode_16_64 3
		.amdhsa_dx10_clamp 1
		.amdhsa_ieee_mode 1
		.amdhsa_fp16_overflow 0
		.amdhsa_tg_split 0
		.amdhsa_exception_fp_ieee_invalid_op 0
		.amdhsa_exception_fp_denorm_src 0
		.amdhsa_exception_fp_ieee_div_zero 0
		.amdhsa_exception_fp_ieee_overflow 0
		.amdhsa_exception_fp_ieee_underflow 0
		.amdhsa_exception_fp_ieee_inexact 0
		.amdhsa_exception_int_div_zero 0
	.end_amdhsa_kernel
	.section	.text._ZN2at6native12_GLOBAL__N_121max_pool_forward_nchwIN3c108BFloat16EiEEvT0_PKT_llliiiiiiiiiiPS6_Pl,"axG",@progbits,_ZN2at6native12_GLOBAL__N_121max_pool_forward_nchwIN3c108BFloat16EiEEvT0_PKT_llliiiiiiiiiiPS6_Pl,comdat
.Lfunc_end14:
	.size	_ZN2at6native12_GLOBAL__N_121max_pool_forward_nchwIN3c108BFloat16EiEEvT0_PKT_llliiiiiiiiiiPS6_Pl, .Lfunc_end14-_ZN2at6native12_GLOBAL__N_121max_pool_forward_nchwIN3c108BFloat16EiEEvT0_PKT_llliiiiiiiiiiPS6_Pl
                                        ; -- End function
	.set _ZN2at6native12_GLOBAL__N_121max_pool_forward_nchwIN3c108BFloat16EiEEvT0_PKT_llliiiiiiiiiiPS6_Pl.num_vgpr, 22
	.set _ZN2at6native12_GLOBAL__N_121max_pool_forward_nchwIN3c108BFloat16EiEEvT0_PKT_llliiiiiiiiiiPS6_Pl.num_agpr, 0
	.set _ZN2at6native12_GLOBAL__N_121max_pool_forward_nchwIN3c108BFloat16EiEEvT0_PKT_llliiiiiiiiiiPS6_Pl.numbered_sgpr, 55
	.set _ZN2at6native12_GLOBAL__N_121max_pool_forward_nchwIN3c108BFloat16EiEEvT0_PKT_llliiiiiiiiiiPS6_Pl.num_named_barrier, 0
	.set _ZN2at6native12_GLOBAL__N_121max_pool_forward_nchwIN3c108BFloat16EiEEvT0_PKT_llliiiiiiiiiiPS6_Pl.private_seg_size, 0
	.set _ZN2at6native12_GLOBAL__N_121max_pool_forward_nchwIN3c108BFloat16EiEEvT0_PKT_llliiiiiiiiiiPS6_Pl.uses_vcc, 1
	.set _ZN2at6native12_GLOBAL__N_121max_pool_forward_nchwIN3c108BFloat16EiEEvT0_PKT_llliiiiiiiiiiPS6_Pl.uses_flat_scratch, 0
	.set _ZN2at6native12_GLOBAL__N_121max_pool_forward_nchwIN3c108BFloat16EiEEvT0_PKT_llliiiiiiiiiiPS6_Pl.has_dyn_sized_stack, 0
	.set _ZN2at6native12_GLOBAL__N_121max_pool_forward_nchwIN3c108BFloat16EiEEvT0_PKT_llliiiiiiiiiiPS6_Pl.has_recursion, 0
	.set _ZN2at6native12_GLOBAL__N_121max_pool_forward_nchwIN3c108BFloat16EiEEvT0_PKT_llliiiiiiiiiiPS6_Pl.has_indirect_call, 0
	.section	.AMDGPU.csdata,"",@progbits
; Kernel info:
; codeLenInByte = 1292
; TotalNumSgprs: 61
; NumVgprs: 22
; NumAgprs: 0
; TotalNumVgprs: 22
; ScratchSize: 0
; MemoryBound: 0
; FloatMode: 240
; IeeeMode: 1
; LDSByteSize: 0 bytes/workgroup (compile time only)
; SGPRBlocks: 7
; VGPRBlocks: 2
; NumSGPRsForWavesPerEU: 61
; NumVGPRsForWavesPerEU: 22
; AccumOffset: 24
; Occupancy: 8
; WaveLimiterHint : 0
; COMPUTE_PGM_RSRC2:SCRATCH_EN: 0
; COMPUTE_PGM_RSRC2:USER_SGPR: 2
; COMPUTE_PGM_RSRC2:TRAP_HANDLER: 0
; COMPUTE_PGM_RSRC2:TGID_X_EN: 1
; COMPUTE_PGM_RSRC2:TGID_Y_EN: 0
; COMPUTE_PGM_RSRC2:TGID_Z_EN: 0
; COMPUTE_PGM_RSRC2:TIDIG_COMP_CNT: 0
; COMPUTE_PGM_RSRC3_GFX90A:ACCUM_OFFSET: 5
; COMPUTE_PGM_RSRC3_GFX90A:TG_SPLIT: 0
	.section	.text._ZN2at6native12_GLOBAL__N_121max_pool_forward_nchwIN3c108BFloat16ElEEvT0_PKT_llliiiiiiiiiiPS6_Pl,"axG",@progbits,_ZN2at6native12_GLOBAL__N_121max_pool_forward_nchwIN3c108BFloat16ElEEvT0_PKT_llliiiiiiiiiiPS6_Pl,comdat
	.globl	_ZN2at6native12_GLOBAL__N_121max_pool_forward_nchwIN3c108BFloat16ElEEvT0_PKT_llliiiiiiiiiiPS6_Pl ; -- Begin function _ZN2at6native12_GLOBAL__N_121max_pool_forward_nchwIN3c108BFloat16ElEEvT0_PKT_llliiiiiiiiiiPS6_Pl
	.p2align	8
	.type	_ZN2at6native12_GLOBAL__N_121max_pool_forward_nchwIN3c108BFloat16ElEEvT0_PKT_llliiiiiiiiiiPS6_Pl,@function
_ZN2at6native12_GLOBAL__N_121max_pool_forward_nchwIN3c108BFloat16ElEEvT0_PKT_llliiiiiiiiiiPS6_Pl: ; @_ZN2at6native12_GLOBAL__N_121max_pool_forward_nchwIN3c108BFloat16ElEEvT0_PKT_llliiiiiiiiiiPS6_Pl
; %bb.0:
	s_load_dword s3, s[0:1], 0x6c
	s_load_dwordx4 s[16:19], s[0:1], 0x0
	s_add_u32 s4, s0, 0x60
	v_mov_b32_e32 v2, 0
	s_addc_u32 s5, s1, 0
	s_waitcnt lgkmcnt(0)
	s_and_b32 s3, s3, 0xffff
	v_mov_b32_e32 v1, v2
	v_mov_b32_e32 v3, s2
	v_mad_u64_u32 v[0:1], s[6:7], s3, v3, v[0:1]
	v_cmp_gt_i64_e32 vcc, s[16:17], v[0:1]
	s_and_saveexec_b64 s[6:7], vcc
	s_cbranch_execz .LBB15_27
; %bb.1:
	s_load_dwordx8 s[8:15], s[0:1], 0x28
	s_load_dwordx4 s[20:23], s[0:1], 0x18
	s_load_dwordx2 s[6:7], s[0:1], 0x48
	s_load_dwordx4 s[24:27], s[0:1], 0x50
	s_load_dword s2, s[4:5], 0x0
	s_waitcnt lgkmcnt(0)
	v_cvt_f32_u32_e32 v3, s9
	s_add_i32 s0, s10, -1
	s_mul_i32 s53, s6, s0
	s_add_i32 s0, s11, -1
	s_mul_i32 s54, s7, s0
	s_ashr_i32 s11, s6, 31
	s_mov_b32 s10, s6
	v_rcp_iflag_f32_e32 v3, v3
	s_ashr_i32 s33, s9, 31
	s_ashr_i32 s48, s8, 31
	;; [unrolled: 1-line block ×3, first 2 shown]
	s_mov_b32 s50, s12
	s_ashr_i32 s29, s14, 31
	s_ashr_i32 s51, s13, 31
	s_mov_b32 s52, s13
	s_ashr_i32 s13, s15, 31
	s_mov_b32 s12, s15
	s_add_i32 s53, s53, 1
	s_add_i32 s54, s54, 1
	s_ashr_i32 s15, s7, 31
	v_cmp_gt_u64_e64 s[0:1], s[10:11], 1
	s_mov_b32 s28, s14
	s_mov_b32 s14, s7
	s_and_b64 s[0:1], s[0:1], exec
	v_cmp_gt_u64_e64 s[0:1], s[14:15], 1
	s_cselect_b32 s55, s11, 0
	s_cselect_b32 s56, s6, 1
	s_and_b64 s[0:1], s[0:1], exec
	v_mul_f32_e32 v3, 0x4f7ffffe, v3
	s_mul_i32 s0, s22, s21
	s_mul_hi_u32 s1, s22, s20
	v_cvt_u32_f32_e32 v18, v3
	s_cselect_b32 s57, s15, 0
	s_cselect_b32 s58, s7, 1
	s_add_i32 s0, s1, s0
	s_mul_i32 s1, s23, s20
	s_add_i32 s1, s0, s1
	s_mul_i32 s0, s22, s20
	s_mul_i32 s30, s2, s3
	s_mov_b32 s31, 0
	s_lshl_b64 s[34:35], s[0:1], 1
	s_lshl_b64 s[36:37], s[14:15], 1
	s_mov_b64 s[38:39], 0
	s_branch .LBB15_4
.LBB15_2:                               ;   in Loop: Header=BB15_4 Depth=1
	s_or_b64 exec, exec, s[42:43]
.LBB15_3:                               ;   in Loop: Header=BB15_4 Depth=1
	s_or_b64 exec, exec, s[40:41]
	v_lshl_add_u64 v[4:5], v[0:1], 1, s[24:25]
	global_store_short v[4:5], v16, off
	v_lshl_add_u64 v[4:5], v[0:1], 3, s[26:27]
	v_lshl_add_u64 v[0:1], v[0:1], 0, s[30:31]
	v_cmp_le_i64_e32 vcc, s[16:17], v[0:1]
	s_or_b64 s[38:39], vcc, s[38:39]
	global_store_dwordx2 v[4:5], v[8:9], off
	s_andn2_b64 exec, exec, s[38:39]
	s_cbranch_execz .LBB15_27
.LBB15_4:                               ; =>This Loop Header: Depth=1
                                        ;     Child Loop BB15_23 Depth 2
                                        ;       Child Loop BB15_25 Depth 3
	v_or_b32_e32 v3, s33, v1
	v_cmp_ne_u64_e32 vcc, 0, v[2:3]
                                        ; implicit-def: $vgpr6_vgpr7
	s_and_saveexec_b64 s[0:1], vcc
	s_xor_b64 s[2:3], exec, s[0:1]
	s_cbranch_execz .LBB15_6
; %bb.5:                                ;   in Loop: Header=BB15_4 Depth=1
	s_ashr_i32 s4, s33, 31
	s_add_u32 s0, s9, s4
	s_mov_b32 s5, s4
	s_addc_u32 s1, s33, s4
	s_xor_b64 s[40:41], s[0:1], s[4:5]
	v_cvt_f32_u32_e32 v3, s40
	v_cvt_f32_u32_e32 v4, s41
	s_sub_u32 s5, 0, s40
	s_subb_u32 s21, 0, s41
	v_mov_b32_e32 v9, v2
	v_fmac_f32_e32 v3, 0x4f800000, v4
	v_rcp_f32_e32 v3, v3
	s_nop 0
	v_mul_f32_e32 v3, 0x5f7ffffc, v3
	v_mul_f32_e32 v4, 0x2f800000, v3
	v_trunc_f32_e32 v4, v4
	v_fmac_f32_e32 v3, 0xcf800000, v4
	v_cvt_u32_f32_e32 v4, v4
	v_cvt_u32_f32_e32 v3, v3
	v_readfirstlane_b32 s42, v4
	v_readfirstlane_b32 s0, v3
	s_mul_i32 s1, s5, s42
	s_mul_hi_u32 s44, s5, s0
	s_mul_i32 s43, s21, s0
	s_add_i32 s1, s44, s1
	s_add_i32 s1, s1, s43
	s_mul_i32 s45, s5, s0
	s_mul_i32 s44, s0, s1
	s_mul_hi_u32 s46, s0, s45
	s_mul_hi_u32 s43, s0, s1
	s_add_u32 s44, s46, s44
	s_addc_u32 s43, 0, s43
	s_mul_hi_u32 s47, s42, s45
	s_mul_i32 s45, s42, s45
	s_add_u32 s44, s44, s45
	s_mul_hi_u32 s46, s42, s1
	s_addc_u32 s43, s43, s47
	s_addc_u32 s44, s46, 0
	s_mul_i32 s1, s42, s1
	s_add_u32 s1, s43, s1
	s_addc_u32 s43, 0, s44
	s_add_u32 s44, s0, s1
	s_cselect_b64 s[0:1], -1, 0
	s_cmp_lg_u64 s[0:1], 0
	s_addc_u32 s42, s42, s43
	s_mul_i32 s0, s5, s42
	s_mul_hi_u32 s1, s5, s44
	s_add_i32 s0, s1, s0
	s_mul_i32 s21, s21, s44
	s_add_i32 s0, s0, s21
	s_mul_i32 s5, s5, s44
	s_mul_hi_u32 s21, s42, s5
	s_mul_i32 s43, s42, s5
	s_mul_i32 s46, s44, s0
	s_mul_hi_u32 s5, s44, s5
	s_mul_hi_u32 s45, s44, s0
	s_add_u32 s5, s5, s46
	s_addc_u32 s45, 0, s45
	s_add_u32 s5, s5, s43
	s_mul_hi_u32 s1, s42, s0
	s_addc_u32 s5, s45, s21
	s_addc_u32 s1, s1, 0
	s_mul_i32 s0, s42, s0
	s_add_u32 s0, s5, s0
	s_addc_u32 s5, 0, s1
	s_add_u32 s21, s44, s0
	v_ashrrev_i32_e32 v4, 31, v1
	s_cselect_b64 s[0:1], -1, 0
	v_mov_b32_e32 v5, v4
	s_cmp_lg_u64 s[0:1], 0
	v_lshl_add_u64 v[6:7], v[0:1], 0, v[4:5]
	s_addc_u32 s5, s42, s5
	v_xor_b32_e32 v5, v6, v4
	v_xor_b32_e32 v3, v7, v4
	v_mad_u64_u32 v[6:7], s[0:1], v5, s5, 0
	v_mul_hi_u32 v8, v5, s21
	v_lshl_add_u64 v[6:7], v[8:9], 0, v[6:7]
	v_mad_u64_u32 v[10:11], s[0:1], v3, s21, 0
	v_add_co_u32_e32 v6, vcc, v6, v10
	v_mad_u64_u32 v[8:9], s[0:1], v3, s5, 0
	s_nop 0
	v_addc_co_u32_e32 v6, vcc, v7, v11, vcc
	v_mov_b32_e32 v7, v2
	s_nop 0
	v_addc_co_u32_e32 v9, vcc, 0, v9, vcc
	v_lshl_add_u64 v[6:7], v[6:7], 0, v[8:9]
	v_mul_lo_u32 v10, s41, v6
	v_mul_lo_u32 v11, s40, v7
	v_mad_u64_u32 v[8:9], s[0:1], s40, v6, 0
	v_add3_u32 v12, v9, v11, v10
	v_sub_u32_e32 v9, v3, v12
	v_mov_b32_e32 v10, s41
	v_sub_co_u32_e32 v5, vcc, v5, v8
	v_xor_b32_e32 v4, s4, v4
	s_nop 0
	v_subb_co_u32_e64 v8, s[0:1], v9, v10, vcc
	v_subrev_co_u32_e64 v9, s[0:1], s40, v5
	v_subb_co_u32_e32 v3, vcc, v3, v12, vcc
	s_nop 0
	v_subbrev_co_u32_e64 v8, s[0:1], 0, v8, s[0:1]
	v_cmp_le_u32_e64 s[0:1], s41, v8
	v_cmp_le_u32_e32 vcc, s41, v3
	s_nop 0
	v_cndmask_b32_e64 v10, 0, -1, s[0:1]
	v_cmp_le_u32_e64 s[0:1], s40, v9
	s_nop 1
	v_cndmask_b32_e64 v9, 0, -1, s[0:1]
	v_cmp_eq_u32_e64 s[0:1], s41, v8
	s_nop 1
	v_cndmask_b32_e64 v13, v10, v9, s[0:1]
	v_lshl_add_u64 v[8:9], v[6:7], 0, 2
	v_lshl_add_u64 v[10:11], v[6:7], 0, 1
	v_cmp_ne_u32_e64 s[0:1], 0, v13
	s_nop 1
	v_cndmask_b32_e64 v9, v11, v9, s[0:1]
	v_cndmask_b32_e64 v11, 0, -1, vcc
	v_cmp_le_u32_e32 vcc, s40, v5
	s_nop 1
	v_cndmask_b32_e64 v5, 0, -1, vcc
	v_cmp_eq_u32_e32 vcc, s41, v3
	s_nop 1
	v_cndmask_b32_e32 v3, v11, v5, vcc
	v_cmp_ne_u32_e32 vcc, 0, v3
	v_cndmask_b32_e64 v5, v10, v8, s[0:1]
	s_nop 0
	v_cndmask_b32_e32 v5, v6, v5, vcc
	v_cndmask_b32_e32 v3, v7, v9, vcc
	v_xor_b32_e32 v5, v5, v4
	v_xor_b32_e32 v3, v3, v4
	v_sub_co_u32_e32 v6, vcc, v5, v4
	s_nop 1
	v_subb_co_u32_e32 v7, vcc, v3, v4, vcc
.LBB15_6:                               ;   in Loop: Header=BB15_4 Depth=1
	s_andn2_saveexec_b64 s[0:1], s[2:3]
	s_cbranch_execz .LBB15_8
; %bb.7:                                ;   in Loop: Header=BB15_4 Depth=1
	s_sub_i32 s2, 0, s9
	v_mul_lo_u32 v3, s2, v18
	v_mul_hi_u32 v3, v18, v3
	v_add_u32_e32 v3, v18, v3
	v_mul_hi_u32 v3, v0, v3
	v_mul_lo_u32 v4, v3, s9
	v_sub_u32_e32 v4, v0, v4
	v_subrev_u32_e32 v5, s9, v4
	v_cmp_le_u32_e32 vcc, s9, v4
	v_mov_b32_e32 v7, v2
	s_nop 0
	v_cndmask_b32_e32 v4, v4, v5, vcc
	v_add_u32_e32 v5, 1, v3
	v_cndmask_b32_e32 v3, v3, v5, vcc
	v_add_u32_e32 v5, 1, v3
	v_cmp_le_u32_e32 vcc, s9, v4
	s_nop 1
	v_cndmask_b32_e32 v6, v3, v5, vcc
.LBB15_8:                               ;   in Loop: Header=BB15_4 Depth=1
	s_or_b64 exec, exec, s[0:1]
	v_or_b32_e32 v3, s48, v7
	v_cmp_ne_u64_e32 vcc, 0, v[2:3]
                                        ; implicit-def: $vgpr4_vgpr5
	s_and_saveexec_b64 s[0:1], vcc
	s_xor_b64 s[2:3], exec, s[0:1]
	s_cbranch_execz .LBB15_10
; %bb.9:                                ;   in Loop: Header=BB15_4 Depth=1
	s_ashr_i32 s4, s48, 31
	s_add_u32 s0, s8, s4
	s_mov_b32 s5, s4
	s_addc_u32 s1, s48, s4
	s_xor_b64 s[40:41], s[0:1], s[4:5]
	v_cvt_f32_u32_e32 v3, s40
	v_cvt_f32_u32_e32 v4, s41
	s_sub_u32 s5, 0, s40
	s_subb_u32 s21, 0, s41
	v_mov_b32_e32 v11, v2
	v_fmac_f32_e32 v3, 0x4f800000, v4
	v_rcp_f32_e32 v3, v3
	s_nop 0
	v_mul_f32_e32 v3, 0x5f7ffffc, v3
	v_mul_f32_e32 v4, 0x2f800000, v3
	v_trunc_f32_e32 v4, v4
	v_fmac_f32_e32 v3, 0xcf800000, v4
	v_cvt_u32_f32_e32 v4, v4
	v_cvt_u32_f32_e32 v3, v3
	v_readfirstlane_b32 s42, v4
	v_readfirstlane_b32 s0, v3
	s_mul_i32 s1, s5, s42
	s_mul_hi_u32 s44, s5, s0
	s_mul_i32 s43, s21, s0
	s_add_i32 s1, s44, s1
	s_add_i32 s1, s1, s43
	s_mul_i32 s45, s5, s0
	s_mul_i32 s44, s0, s1
	s_mul_hi_u32 s46, s0, s45
	s_mul_hi_u32 s43, s0, s1
	s_add_u32 s44, s46, s44
	s_addc_u32 s43, 0, s43
	s_mul_hi_u32 s47, s42, s45
	s_mul_i32 s45, s42, s45
	s_add_u32 s44, s44, s45
	s_mul_hi_u32 s46, s42, s1
	s_addc_u32 s43, s43, s47
	s_addc_u32 s44, s46, 0
	s_mul_i32 s1, s42, s1
	s_add_u32 s1, s43, s1
	s_addc_u32 s43, 0, s44
	s_add_u32 s44, s0, s1
	s_cselect_b64 s[0:1], -1, 0
	s_cmp_lg_u64 s[0:1], 0
	s_addc_u32 s42, s42, s43
	s_mul_i32 s0, s5, s42
	s_mul_hi_u32 s1, s5, s44
	s_add_i32 s0, s1, s0
	s_mul_i32 s21, s21, s44
	s_add_i32 s0, s0, s21
	s_mul_i32 s5, s5, s44
	s_mul_hi_u32 s21, s42, s5
	s_mul_i32 s43, s42, s5
	s_mul_i32 s46, s44, s0
	s_mul_hi_u32 s5, s44, s5
	s_mul_hi_u32 s45, s44, s0
	s_add_u32 s5, s5, s46
	s_addc_u32 s45, 0, s45
	s_add_u32 s5, s5, s43
	s_mul_hi_u32 s1, s42, s0
	s_addc_u32 s5, s45, s21
	s_addc_u32 s1, s1, 0
	s_mul_i32 s0, s42, s0
	s_add_u32 s0, s5, s0
	s_addc_u32 s5, 0, s1
	s_add_u32 s21, s44, s0
	v_ashrrev_i32_e32 v4, 31, v7
	s_cselect_b64 s[0:1], -1, 0
	v_mov_b32_e32 v5, v4
	s_cmp_lg_u64 s[0:1], 0
	v_lshl_add_u64 v[8:9], v[6:7], 0, v[4:5]
	s_addc_u32 s5, s42, s5
	v_xor_b32_e32 v5, v8, v4
	v_xor_b32_e32 v3, v9, v4
	v_mad_u64_u32 v[8:9], s[0:1], v5, s5, 0
	v_mul_hi_u32 v10, v5, s21
	v_lshl_add_u64 v[8:9], v[10:11], 0, v[8:9]
	v_mad_u64_u32 v[12:13], s[0:1], v3, s21, 0
	v_add_co_u32_e32 v8, vcc, v8, v12
	v_mad_u64_u32 v[10:11], s[0:1], v3, s5, 0
	s_nop 0
	v_addc_co_u32_e32 v8, vcc, v9, v13, vcc
	v_mov_b32_e32 v9, v2
	s_nop 0
	v_addc_co_u32_e32 v11, vcc, 0, v11, vcc
	v_lshl_add_u64 v[8:9], v[8:9], 0, v[10:11]
	v_mul_lo_u32 v12, s41, v8
	v_mul_lo_u32 v13, s40, v9
	v_mad_u64_u32 v[10:11], s[0:1], s40, v8, 0
	v_add3_u32 v14, v11, v13, v12
	v_sub_u32_e32 v11, v3, v14
	v_mov_b32_e32 v12, s41
	v_sub_co_u32_e32 v5, vcc, v5, v10
	s_nop 1
	v_subb_co_u32_e64 v10, s[0:1], v11, v12, vcc
	v_subrev_co_u32_e64 v11, s[0:1], s40, v5
	v_subb_co_u32_e32 v3, vcc, v3, v14, vcc
	s_nop 0
	v_subbrev_co_u32_e64 v10, s[0:1], 0, v10, s[0:1]
	v_cmp_le_u32_e64 s[0:1], s41, v10
	v_cmp_le_u32_e32 vcc, s41, v3
	s_nop 0
	v_cndmask_b32_e64 v12, 0, -1, s[0:1]
	v_cmp_le_u32_e64 s[0:1], s40, v11
	s_nop 1
	v_cndmask_b32_e64 v11, 0, -1, s[0:1]
	v_cmp_eq_u32_e64 s[0:1], s41, v10
	s_nop 1
	v_cndmask_b32_e64 v15, v12, v11, s[0:1]
	v_lshl_add_u64 v[10:11], v[8:9], 0, 2
	v_lshl_add_u64 v[12:13], v[8:9], 0, 1
	v_cmp_ne_u32_e64 s[0:1], 0, v15
	s_nop 1
	v_cndmask_b32_e64 v11, v13, v11, s[0:1]
	v_cndmask_b32_e64 v13, 0, -1, vcc
	v_cmp_le_u32_e32 vcc, s40, v5
	s_nop 1
	v_cndmask_b32_e64 v5, 0, -1, vcc
	v_cmp_eq_u32_e32 vcc, s41, v3
	s_nop 1
	v_cndmask_b32_e32 v3, v13, v5, vcc
	v_cmp_ne_u32_e32 vcc, 0, v3
	v_cndmask_b32_e64 v5, v12, v10, s[0:1]
	s_nop 0
	v_cndmask_b32_e32 v5, v8, v5, vcc
	v_xor_b32_e32 v8, s4, v4
	v_cndmask_b32_e32 v3, v9, v11, vcc
	v_xor_b32_e32 v4, v5, v8
	v_xor_b32_e32 v3, v3, v8
	v_sub_co_u32_e32 v4, vcc, v4, v8
	s_nop 1
	v_subb_co_u32_e32 v5, vcc, v3, v8, vcc
.LBB15_10:                              ;   in Loop: Header=BB15_4 Depth=1
	s_andn2_saveexec_b64 s[0:1], s[2:3]
	s_cbranch_execz .LBB15_12
; %bb.11:                               ;   in Loop: Header=BB15_4 Depth=1
	v_cvt_f32_u32_e32 v3, s8
	s_sub_i32 s2, 0, s8
	v_rcp_iflag_f32_e32 v3, v3
	s_nop 0
	v_mul_f32_e32 v3, 0x4f7ffffe, v3
	v_cvt_u32_f32_e32 v3, v3
	v_mul_lo_u32 v4, s2, v3
	v_mul_hi_u32 v4, v3, v4
	v_add_u32_e32 v3, v3, v4
	v_mul_hi_u32 v3, v6, v3
	v_mul_lo_u32 v4, v3, s8
	v_sub_u32_e32 v4, v6, v4
	v_add_u32_e32 v5, 1, v3
	v_subrev_u32_e32 v8, s8, v4
	v_cmp_le_u32_e32 vcc, s8, v4
	s_nop 1
	v_cndmask_b32_e32 v4, v4, v8, vcc
	v_cndmask_b32_e32 v3, v3, v5, vcc
	v_add_u32_e32 v5, 1, v3
	v_cmp_le_u32_e32 vcc, s8, v4
	s_nop 1
	v_cndmask_b32_e32 v4, v3, v5, vcc
	v_mov_b32_e32 v5, v2
.LBB15_12:                              ;   in Loop: Header=BB15_4 Depth=1
	s_or_b64 exec, exec, s[0:1]
	v_mul_lo_u32 v3, v5, s8
	v_mul_lo_u32 v10, v4, s48
	v_mad_u64_u32 v[8:9], s[0:1], v4, s8, 0
	v_add3_u32 v3, v9, v10, v3
	v_sub_co_u32_e32 v14, vcc, v6, v8
	v_mul_lo_u32 v16, v14, s49
	s_nop 0
	v_subb_co_u32_e32 v3, vcc, v7, v3, vcc
	v_mul_lo_u32 v3, v3, s50
	v_mad_u64_u32 v[10:11], s[0:1], v14, s50, 0
	v_add3_u32 v11, v11, v16, v3
	v_mov_b32_e32 v9, s29
	v_subrev_co_u32_e32 v8, vcc, s28, v10
	s_nop 1
	v_subb_co_u32_e32 v9, vcc, v11, v9, vcc
	v_cmp_lt_i64_e32 vcc, 0, v[8:9]
	s_nop 1
	v_cndmask_b32_e32 v13, 0, v9, vcc
	v_cndmask_b32_e32 v12, 0, v8, vcc
	v_lshl_add_u64 v[12:13], v[12:13], 0, s[28:29]
	v_cmp_ne_u64_e32 vcc, v[12:13], v[10:11]
	v_mov_b32_e32 v11, s31
	s_nop 0
	v_cndmask_b32_e64 v10, 0, 1, vcc
	v_mad_u64_u32 v[14:15], s[0:1], v14, s50, v[10:11]
	v_add3_u32 v3, v3, v15, v16
	v_sub_co_u32_e32 v14, vcc, v12, v14
	s_nop 1
	v_subb_co_u32_e32 v15, vcc, v13, v3, vcc
	v_or_b32_e32 v3, s55, v15
	v_cmp_ne_u64_e32 vcc, 0, v[2:3]
                                        ; implicit-def: $vgpr12_vgpr13
	s_and_saveexec_b64 s[0:1], vcc
	s_xor_b64 s[2:3], exec, s[0:1]
	s_cbranch_execz .LBB15_14
; %bb.13:                               ;   in Loop: Header=BB15_4 Depth=1
	v_cvt_f32_u32_e32 v3, s56
	v_cvt_f32_u32_e32 v12, s55
	s_sub_u32 s4, 0, s56
	s_subb_u32 s5, 0, s55
	v_mov_b32_e32 v17, v2
	v_fmac_f32_e32 v3, 0x4f800000, v12
	v_rcp_f32_e32 v3, v3
	s_nop 0
	v_mul_f32_e32 v3, 0x5f7ffffc, v3
	v_mul_f32_e32 v12, 0x2f800000, v3
	v_trunc_f32_e32 v12, v12
	v_fmac_f32_e32 v3, 0xcf800000, v12
	v_cvt_u32_f32_e32 v12, v12
	v_cvt_u32_f32_e32 v3, v3
	v_readfirstlane_b32 s21, v12
	v_readfirstlane_b32 s0, v3
	s_mul_i32 s1, s4, s21
	s_mul_hi_u32 s41, s4, s0
	s_mul_i32 s40, s5, s0
	s_add_i32 s1, s41, s1
	s_mul_i32 s42, s4, s0
	s_add_i32 s1, s1, s40
	s_mul_i32 s41, s0, s1
	s_mul_hi_u32 s43, s0, s42
	s_mul_hi_u32 s40, s0, s1
	s_add_u32 s41, s43, s41
	s_addc_u32 s40, 0, s40
	s_mul_hi_u32 s44, s21, s42
	s_mul_i32 s42, s21, s42
	s_add_u32 s41, s41, s42
	s_mul_hi_u32 s43, s21, s1
	s_addc_u32 s40, s40, s44
	s_addc_u32 s41, s43, 0
	s_mul_i32 s1, s21, s1
	s_add_u32 s1, s40, s1
	s_addc_u32 s40, 0, s41
	s_add_u32 s41, s0, s1
	s_cselect_b64 s[0:1], -1, 0
	s_cmp_lg_u64 s[0:1], 0
	s_addc_u32 s21, s21, s40
	s_mul_i32 s0, s4, s21
	s_mul_hi_u32 s1, s4, s41
	s_add_i32 s0, s1, s0
	s_mul_i32 s5, s5, s41
	s_add_i32 s0, s0, s5
	s_mul_i32 s4, s4, s41
	s_mul_hi_u32 s5, s21, s4
	s_mul_i32 s40, s21, s4
	s_mul_i32 s43, s41, s0
	s_mul_hi_u32 s4, s41, s4
	s_mul_hi_u32 s42, s41, s0
	s_add_u32 s4, s4, s43
	s_addc_u32 s42, 0, s42
	s_add_u32 s4, s4, s40
	s_mul_hi_u32 s1, s21, s0
	s_addc_u32 s4, s42, s5
	s_addc_u32 s1, s1, 0
	s_mul_i32 s0, s21, s0
	s_add_u32 s0, s4, s0
	s_addc_u32 s4, 0, s1
	s_add_u32 s5, s41, s0
	s_cselect_b64 s[0:1], -1, 0
	s_cmp_lg_u64 s[0:1], 0
	s_addc_u32 s4, s21, s4
	v_mad_u64_u32 v[12:13], s[0:1], v14, s4, 0
	v_mul_hi_u32 v16, v14, s5
	v_lshl_add_u64 v[12:13], v[16:17], 0, v[12:13]
	v_mad_u64_u32 v[20:21], s[0:1], v15, s5, 0
	v_add_co_u32_e32 v3, vcc, v12, v20
	v_mad_u64_u32 v[16:17], s[0:1], v15, s4, 0
	s_nop 0
	v_addc_co_u32_e32 v12, vcc, v13, v21, vcc
	v_mov_b32_e32 v13, v2
	s_nop 0
	v_addc_co_u32_e32 v17, vcc, 0, v17, vcc
	v_lshl_add_u64 v[12:13], v[12:13], 0, v[16:17]
	v_mul_lo_u32 v3, s55, v12
	v_mul_lo_u32 v19, s56, v13
	v_mad_u64_u32 v[16:17], s[0:1], s56, v12, 0
	v_add3_u32 v3, v17, v19, v3
	v_sub_u32_e32 v17, v15, v3
	v_mov_b32_e32 v19, s55
	v_sub_co_u32_e32 v14, vcc, v14, v16
	v_lshl_add_u64 v[20:21], v[12:13], 0, 1
	s_nop 0
	v_subb_co_u32_e64 v16, s[0:1], v17, v19, vcc
	v_subrev_co_u32_e64 v17, s[0:1], s56, v14
	v_subb_co_u32_e32 v3, vcc, v15, v3, vcc
	s_nop 0
	v_subbrev_co_u32_e64 v16, s[0:1], 0, v16, s[0:1]
	v_cmp_le_u32_e64 s[0:1], s55, v16
	v_cmp_le_u32_e32 vcc, s55, v3
	s_nop 0
	v_cndmask_b32_e64 v19, 0, -1, s[0:1]
	v_cmp_le_u32_e64 s[0:1], s56, v17
	v_cndmask_b32_e64 v15, 0, -1, vcc
	v_cmp_le_u32_e32 vcc, s56, v14
	v_cndmask_b32_e64 v17, 0, -1, s[0:1]
	v_cmp_eq_u32_e64 s[0:1], s55, v16
	v_cndmask_b32_e64 v14, 0, -1, vcc
	v_cmp_eq_u32_e32 vcc, s55, v3
	v_cndmask_b32_e64 v19, v19, v17, s[0:1]
	v_lshl_add_u64 v[16:17], v[12:13], 0, 2
	v_cmp_ne_u32_e64 s[0:1], 0, v19
	v_cndmask_b32_e32 v3, v15, v14, vcc
	v_cmp_ne_u32_e32 vcc, 0, v3
	v_cndmask_b32_e64 v17, v21, v17, s[0:1]
	v_cndmask_b32_e64 v3, v20, v16, s[0:1]
	v_cndmask_b32_e32 v13, v13, v17, vcc
	v_cndmask_b32_e32 v12, v12, v3, vcc
                                        ; implicit-def: $vgpr14
.LBB15_14:                              ;   in Loop: Header=BB15_4 Depth=1
	s_andn2_saveexec_b64 s[0:1], s[2:3]
	s_cbranch_execz .LBB15_16
; %bb.15:                               ;   in Loop: Header=BB15_4 Depth=1
	v_cvt_f32_u32_e32 v3, s56
	s_sub_i32 s2, 0, s56
	v_rcp_iflag_f32_e32 v3, v3
	s_nop 0
	v_mul_f32_e32 v3, 0x4f7ffffe, v3
	v_cvt_u32_f32_e32 v3, v3
	v_mul_lo_u32 v12, s2, v3
	v_mul_hi_u32 v12, v3, v12
	v_add_u32_e32 v3, v3, v12
	v_mul_hi_u32 v3, v14, v3
	v_mul_lo_u32 v12, v3, s56
	v_sub_u32_e32 v12, v14, v12
	v_add_u32_e32 v13, 1, v3
	v_subrev_u32_e32 v14, s56, v12
	v_cmp_le_u32_e32 vcc, s56, v12
	s_nop 1
	v_cndmask_b32_e32 v12, v12, v14, vcc
	v_cndmask_b32_e32 v3, v3, v13, vcc
	v_add_u32_e32 v13, 1, v3
	v_cmp_le_u32_e32 vcc, s56, v12
	s_nop 1
	v_cndmask_b32_e32 v12, v3, v13, vcc
	v_mov_b32_e32 v13, v2
.LBB15_16:                              ;   in Loop: Header=BB15_4 Depth=1
	s_or_b64 exec, exec, s[0:1]
	v_mul_lo_u32 v3, v7, s9
	v_mul_lo_u32 v14, v6, s33
	v_mad_u64_u32 v[6:7], s[0:1], v6, s9, 0
	v_add3_u32 v3, v7, v14, v3
	v_sub_co_u32_e32 v19, vcc, v0, v6
	v_mul_lo_u32 v22, v19, s51
	s_nop 0
	v_subb_co_u32_e32 v3, vcc, v1, v3, vcc
	v_mul_lo_u32 v3, v3, s52
	v_mad_u64_u32 v[14:15], s[0:1], v19, s52, 0
	v_add3_u32 v15, v15, v22, v3
	v_mov_b32_e32 v7, s13
	v_subrev_co_u32_e32 v6, vcc, s12, v14
	s_nop 1
	v_subb_co_u32_e32 v7, vcc, v15, v7, vcc
	v_cmp_lt_i64_e32 vcc, 0, v[6:7]
	s_nop 1
	v_cndmask_b32_e32 v17, 0, v7, vcc
	v_cndmask_b32_e32 v16, 0, v6, vcc
	v_lshl_add_u64 v[16:17], v[16:17], 0, s[12:13]
	v_cmp_ne_u64_e32 vcc, v[16:17], v[14:15]
	v_mov_b32_e32 v15, s31
	s_nop 0
	v_cndmask_b32_e64 v14, 0, 1, vcc
	v_mad_u64_u32 v[20:21], s[0:1], v19, s52, v[14:15]
	v_add3_u32 v3, v3, v21, v22
	v_sub_co_u32_e32 v19, vcc, v16, v20
	s_nop 1
	v_subb_co_u32_e32 v20, vcc, v17, v3, vcc
	v_or_b32_e32 v3, s57, v20
	v_cmp_ne_u64_e32 vcc, 0, v[2:3]
                                        ; implicit-def: $vgpr16_vgpr17
	s_and_saveexec_b64 s[0:1], vcc
	s_xor_b64 s[2:3], exec, s[0:1]
	s_cbranch_execz .LBB15_18
; %bb.17:                               ;   in Loop: Header=BB15_4 Depth=1
	v_cvt_f32_u32_e32 v3, s58
	v_cvt_f32_u32_e32 v16, s57
	s_sub_u32 s4, 0, s58
	s_subb_u32 s5, 0, s57
	v_mov_b32_e32 v23, v2
	v_fmac_f32_e32 v3, 0x4f800000, v16
	v_rcp_f32_e32 v3, v3
	s_nop 0
	v_mul_f32_e32 v3, 0x5f7ffffc, v3
	v_mul_f32_e32 v16, 0x2f800000, v3
	v_trunc_f32_e32 v16, v16
	v_fmac_f32_e32 v3, 0xcf800000, v16
	v_cvt_u32_f32_e32 v16, v16
	v_cvt_u32_f32_e32 v3, v3
	v_readfirstlane_b32 s21, v16
	v_readfirstlane_b32 s0, v3
	s_mul_i32 s1, s4, s21
	s_mul_hi_u32 s41, s4, s0
	s_mul_i32 s40, s5, s0
	s_add_i32 s1, s41, s1
	s_mul_i32 s42, s4, s0
	s_add_i32 s1, s1, s40
	s_mul_i32 s41, s0, s1
	s_mul_hi_u32 s43, s0, s42
	s_mul_hi_u32 s40, s0, s1
	s_add_u32 s41, s43, s41
	s_addc_u32 s40, 0, s40
	s_mul_hi_u32 s44, s21, s42
	s_mul_i32 s42, s21, s42
	s_add_u32 s41, s41, s42
	s_mul_hi_u32 s43, s21, s1
	s_addc_u32 s40, s40, s44
	s_addc_u32 s41, s43, 0
	s_mul_i32 s1, s21, s1
	s_add_u32 s1, s40, s1
	s_addc_u32 s40, 0, s41
	s_add_u32 s41, s0, s1
	s_cselect_b64 s[0:1], -1, 0
	s_cmp_lg_u64 s[0:1], 0
	s_addc_u32 s21, s21, s40
	s_mul_i32 s0, s4, s21
	s_mul_hi_u32 s1, s4, s41
	s_add_i32 s0, s1, s0
	s_mul_i32 s5, s5, s41
	s_add_i32 s0, s0, s5
	s_mul_i32 s4, s4, s41
	s_mul_hi_u32 s5, s21, s4
	s_mul_i32 s40, s21, s4
	s_mul_i32 s43, s41, s0
	s_mul_hi_u32 s4, s41, s4
	s_mul_hi_u32 s42, s41, s0
	s_add_u32 s4, s4, s43
	s_addc_u32 s42, 0, s42
	s_add_u32 s4, s4, s40
	s_mul_hi_u32 s1, s21, s0
	s_addc_u32 s4, s42, s5
	s_addc_u32 s1, s1, 0
	s_mul_i32 s0, s21, s0
	s_add_u32 s0, s4, s0
	s_addc_u32 s4, 0, s1
	s_add_u32 s5, s41, s0
	s_cselect_b64 s[0:1], -1, 0
	s_cmp_lg_u64 s[0:1], 0
	s_addc_u32 s4, s21, s4
	v_mad_u64_u32 v[16:17], s[0:1], v19, s4, 0
	v_mul_hi_u32 v22, v19, s5
	v_lshl_add_u64 v[16:17], v[22:23], 0, v[16:17]
	v_mad_u64_u32 v[24:25], s[0:1], v20, s5, 0
	v_add_co_u32_e32 v3, vcc, v16, v24
	v_mad_u64_u32 v[22:23], s[0:1], v20, s4, 0
	s_nop 0
	v_addc_co_u32_e32 v16, vcc, v17, v25, vcc
	v_mov_b32_e32 v17, v2
	s_nop 0
	v_addc_co_u32_e32 v23, vcc, 0, v23, vcc
	v_lshl_add_u64 v[16:17], v[16:17], 0, v[22:23]
	v_mul_lo_u32 v3, s57, v16
	v_mul_lo_u32 v21, s58, v17
	v_mad_u64_u32 v[22:23], s[0:1], s58, v16, 0
	v_add3_u32 v3, v23, v21, v3
	v_sub_u32_e32 v21, v20, v3
	v_mov_b32_e32 v23, s57
	v_sub_co_u32_e32 v19, vcc, v19, v22
	v_lshl_add_u64 v[24:25], v[16:17], 0, 1
	s_nop 0
	v_subb_co_u32_e64 v21, s[0:1], v21, v23, vcc
	v_subrev_co_u32_e64 v22, s[0:1], s58, v19
	v_subb_co_u32_e32 v3, vcc, v20, v3, vcc
	s_nop 0
	v_subbrev_co_u32_e64 v21, s[0:1], 0, v21, s[0:1]
	v_cmp_le_u32_e64 s[0:1], s57, v21
	v_cmp_le_u32_e32 vcc, s57, v3
	s_nop 0
	v_cndmask_b32_e64 v23, 0, -1, s[0:1]
	v_cmp_le_u32_e64 s[0:1], s58, v22
	v_cndmask_b32_e64 v20, 0, -1, vcc
	v_cmp_le_u32_e32 vcc, s58, v19
	v_cndmask_b32_e64 v22, 0, -1, s[0:1]
	v_cmp_eq_u32_e64 s[0:1], s57, v21
	v_cndmask_b32_e64 v19, 0, -1, vcc
	v_cmp_eq_u32_e32 vcc, s57, v3
	v_cndmask_b32_e64 v21, v23, v22, s[0:1]
	v_lshl_add_u64 v[22:23], v[16:17], 0, 2
	v_cmp_ne_u32_e64 s[0:1], 0, v21
	v_cndmask_b32_e32 v3, v20, v19, vcc
	v_cmp_ne_u32_e32 vcc, 0, v3
	v_cndmask_b32_e64 v21, v25, v23, s[0:1]
	v_cndmask_b32_e64 v3, v24, v22, s[0:1]
	v_cndmask_b32_e32 v17, v17, v21, vcc
	v_cndmask_b32_e32 v16, v16, v3, vcc
                                        ; implicit-def: $vgpr19
.LBB15_18:                              ;   in Loop: Header=BB15_4 Depth=1
	s_andn2_saveexec_b64 s[0:1], s[2:3]
	s_cbranch_execz .LBB15_20
; %bb.19:                               ;   in Loop: Header=BB15_4 Depth=1
	v_cvt_f32_u32_e32 v3, s58
	s_sub_i32 s2, 0, s58
	v_rcp_iflag_f32_e32 v3, v3
	s_nop 0
	v_mul_f32_e32 v3, 0x4f7ffffe, v3
	v_cvt_u32_f32_e32 v3, v3
	v_mul_lo_u32 v16, s2, v3
	v_mul_hi_u32 v16, v3, v16
	v_add_u32_e32 v3, v3, v16
	v_mul_hi_u32 v3, v19, v3
	v_mul_lo_u32 v16, v3, s58
	v_sub_u32_e32 v16, v19, v16
	v_add_u32_e32 v17, 1, v3
	v_subrev_u32_e32 v19, s58, v16
	v_cmp_le_u32_e32 vcc, s58, v16
	s_nop 1
	v_cndmask_b32_e32 v16, v16, v19, vcc
	v_cndmask_b32_e32 v3, v3, v17, vcc
	v_add_u32_e32 v17, 1, v3
	v_cmp_le_u32_e32 vcc, s58, v16
	s_nop 1
	v_cndmask_b32_e32 v16, v3, v17, vcc
	v_mov_b32_e32 v17, v2
.LBB15_20:                              ;   in Loop: Header=BB15_4 Depth=1
	s_or_b64 exec, exec, s[0:1]
	v_lshl_add_u64 v[10:11], v[12:13], 0, v[10:11]
	v_mul_lo_u32 v3, v10, s11
	v_mul_lo_u32 v12, v11, s10
	v_mad_u64_u32 v[10:11], s[0:1], v10, s10, v[8:9]
	v_add3_u32 v3, v12, v11, v3
	v_add_u32_e32 v11, s53, v8
	v_lshl_add_u64 v[8:9], v[16:17], 0, v[14:15]
	v_mul_lo_u32 v14, v8, s15
	v_mul_lo_u32 v9, v9, s14
	v_mad_u64_u32 v[12:13], s[0:1], v8, s14, v[6:7]
	v_add3_u32 v13, v9, v13, v14
	v_min_i32_e32 v11, s20, v11
	v_mul_lo_u32 v3, v3, s22
	v_mad_u64_u32 v[8:9], s[0:1], v10, s22, v[12:13]
	v_mul_lo_u32 v7, v10, s23
	v_add3_u32 v9, v3, v9, v7
	v_cmp_gt_i32_e32 vcc, v11, v10
	v_mov_b32_e32 v16, 0xffffff80
	s_and_saveexec_b64 s[40:41], vcc
	s_cbranch_execz .LBB15_3
; %bb.21:                               ;   in Loop: Header=BB15_4 Depth=1
	v_add_u32_e32 v3, s54, v6
	v_mov_b64_e32 v[6:7], s[18:19]
	v_min_i32_e32 v17, s22, v3
	v_mad_u64_u32 v[6:7], s[0:1], s34, v4, v[6:7]
	v_mul_lo_u32 v5, s34, v5
	v_mul_lo_u32 v4, s35, v4
	v_ashrrev_i32_e32 v3, 31, v10
	v_cmp_gt_i32_e32 vcc, v17, v12
	v_add3_u32 v7, v4, v7, v5
	v_mov_b32_e32 v16, 0xffffff80
	s_mov_b64 s[42:43], 0
	s_branch .LBB15_23
.LBB15_22:                              ;   in Loop: Header=BB15_23 Depth=2
	s_or_b64 exec, exec, s[44:45]
	v_add_u32_e32 v10, s6, v10
	v_cmp_ge_i32_e64 s[0:1], v10, v11
	s_or_b64 s[42:43], s[0:1], s[42:43]
	v_ashrrev_i32_e32 v3, 31, v10
	s_andn2_b64 exec, exec, s[42:43]
	s_cbranch_execz .LBB15_2
.LBB15_23:                              ;   Parent Loop BB15_4 Depth=1
                                        ; =>  This Loop Header: Depth=2
                                        ;       Child Loop BB15_25 Depth 3
	s_and_saveexec_b64 s[44:45], vcc
	s_cbranch_execz .LBB15_22
; %bb.24:                               ;   in Loop: Header=BB15_23 Depth=2
	v_ashrrev_i32_e32 v13, 31, v12
	v_mul_lo_u32 v14, v10, s23
	v_mul_lo_u32 v3, v3, s22
	v_mad_u64_u32 v[4:5], s[0:1], v10, s22, v[12:13]
	v_add3_u32 v5, v3, v5, v14
	v_lshl_add_u64 v[14:15], v[4:5], 1, v[6:7]
	s_mov_b64 s[46:47], 0
	v_mov_b32_e32 v3, v12
.LBB15_25:                              ;   Parent Loop BB15_4 Depth=1
                                        ;     Parent Loop BB15_23 Depth=2
                                        ; =>    This Inner Loop Header: Depth=3
	global_load_ushort v13, v[14:15], off
	v_lshlrev_b32_e32 v19, 16, v16
	v_add_u32_e32 v3, s7, v3
	v_cmp_ge_i32_e64 s[0:1], v3, v17
	v_lshl_add_u64 v[14:15], v[14:15], 0, s[36:37]
	s_waitcnt vmcnt(0)
	v_lshlrev_b32_e32 v20, 16, v13
	v_cmp_gt_f32_e64 s[2:3], v20, v19
	v_cmp_u_f32_e64 s[4:5], v20, v20
	s_or_b64 s[2:3], s[2:3], s[4:5]
	v_cndmask_b32_e64 v16, v16, v13, s[2:3]
	v_cndmask_b32_e64 v9, v9, v5, s[2:3]
	v_cndmask_b32_e64 v8, v8, v4, s[2:3]
	s_or_b64 s[46:47], s[0:1], s[46:47]
	v_lshl_add_u64 v[4:5], v[4:5], 0, s[14:15]
	s_andn2_b64 exec, exec, s[46:47]
	s_cbranch_execnz .LBB15_25
; %bb.26:                               ;   in Loop: Header=BB15_23 Depth=2
	s_or_b64 exec, exec, s[46:47]
	s_branch .LBB15_22
.LBB15_27:
	s_endpgm
	.section	.rodata,"a",@progbits
	.p2align	6, 0x0
	.amdhsa_kernel _ZN2at6native12_GLOBAL__N_121max_pool_forward_nchwIN3c108BFloat16ElEEvT0_PKT_llliiiiiiiiiiPS6_Pl
		.amdhsa_group_segment_fixed_size 0
		.amdhsa_private_segment_fixed_size 0
		.amdhsa_kernarg_size 352
		.amdhsa_user_sgpr_count 2
		.amdhsa_user_sgpr_dispatch_ptr 0
		.amdhsa_user_sgpr_queue_ptr 0
		.amdhsa_user_sgpr_kernarg_segment_ptr 1
		.amdhsa_user_sgpr_dispatch_id 0
		.amdhsa_user_sgpr_kernarg_preload_length 0
		.amdhsa_user_sgpr_kernarg_preload_offset 0
		.amdhsa_user_sgpr_private_segment_size 0
		.amdhsa_uses_dynamic_stack 0
		.amdhsa_enable_private_segment 0
		.amdhsa_system_sgpr_workgroup_id_x 1
		.amdhsa_system_sgpr_workgroup_id_y 0
		.amdhsa_system_sgpr_workgroup_id_z 0
		.amdhsa_system_sgpr_workgroup_info 0
		.amdhsa_system_vgpr_workitem_id 0
		.amdhsa_next_free_vgpr 26
		.amdhsa_next_free_sgpr 59
		.amdhsa_accum_offset 28
		.amdhsa_reserve_vcc 1
		.amdhsa_float_round_mode_32 0
		.amdhsa_float_round_mode_16_64 0
		.amdhsa_float_denorm_mode_32 3
		.amdhsa_float_denorm_mode_16_64 3
		.amdhsa_dx10_clamp 1
		.amdhsa_ieee_mode 1
		.amdhsa_fp16_overflow 0
		.amdhsa_tg_split 0
		.amdhsa_exception_fp_ieee_invalid_op 0
		.amdhsa_exception_fp_denorm_src 0
		.amdhsa_exception_fp_ieee_div_zero 0
		.amdhsa_exception_fp_ieee_overflow 0
		.amdhsa_exception_fp_ieee_underflow 0
		.amdhsa_exception_fp_ieee_inexact 0
		.amdhsa_exception_int_div_zero 0
	.end_amdhsa_kernel
	.section	.text._ZN2at6native12_GLOBAL__N_121max_pool_forward_nchwIN3c108BFloat16ElEEvT0_PKT_llliiiiiiiiiiPS6_Pl,"axG",@progbits,_ZN2at6native12_GLOBAL__N_121max_pool_forward_nchwIN3c108BFloat16ElEEvT0_PKT_llliiiiiiiiiiPS6_Pl,comdat
.Lfunc_end15:
	.size	_ZN2at6native12_GLOBAL__N_121max_pool_forward_nchwIN3c108BFloat16ElEEvT0_PKT_llliiiiiiiiiiPS6_Pl, .Lfunc_end15-_ZN2at6native12_GLOBAL__N_121max_pool_forward_nchwIN3c108BFloat16ElEEvT0_PKT_llliiiiiiiiiiPS6_Pl
                                        ; -- End function
	.set _ZN2at6native12_GLOBAL__N_121max_pool_forward_nchwIN3c108BFloat16ElEEvT0_PKT_llliiiiiiiiiiPS6_Pl.num_vgpr, 26
	.set _ZN2at6native12_GLOBAL__N_121max_pool_forward_nchwIN3c108BFloat16ElEEvT0_PKT_llliiiiiiiiiiPS6_Pl.num_agpr, 0
	.set _ZN2at6native12_GLOBAL__N_121max_pool_forward_nchwIN3c108BFloat16ElEEvT0_PKT_llliiiiiiiiiiPS6_Pl.numbered_sgpr, 59
	.set _ZN2at6native12_GLOBAL__N_121max_pool_forward_nchwIN3c108BFloat16ElEEvT0_PKT_llliiiiiiiiiiPS6_Pl.num_named_barrier, 0
	.set _ZN2at6native12_GLOBAL__N_121max_pool_forward_nchwIN3c108BFloat16ElEEvT0_PKT_llliiiiiiiiiiPS6_Pl.private_seg_size, 0
	.set _ZN2at6native12_GLOBAL__N_121max_pool_forward_nchwIN3c108BFloat16ElEEvT0_PKT_llliiiiiiiiiiPS6_Pl.uses_vcc, 1
	.set _ZN2at6native12_GLOBAL__N_121max_pool_forward_nchwIN3c108BFloat16ElEEvT0_PKT_llliiiiiiiiiiPS6_Pl.uses_flat_scratch, 0
	.set _ZN2at6native12_GLOBAL__N_121max_pool_forward_nchwIN3c108BFloat16ElEEvT0_PKT_llliiiiiiiiiiPS6_Pl.has_dyn_sized_stack, 0
	.set _ZN2at6native12_GLOBAL__N_121max_pool_forward_nchwIN3c108BFloat16ElEEvT0_PKT_llliiiiiiiiiiPS6_Pl.has_recursion, 0
	.set _ZN2at6native12_GLOBAL__N_121max_pool_forward_nchwIN3c108BFloat16ElEEvT0_PKT_llliiiiiiiiiiPS6_Pl.has_indirect_call, 0
	.section	.AMDGPU.csdata,"",@progbits
; Kernel info:
; codeLenInByte = 4088
; TotalNumSgprs: 65
; NumVgprs: 26
; NumAgprs: 0
; TotalNumVgprs: 26
; ScratchSize: 0
; MemoryBound: 0
; FloatMode: 240
; IeeeMode: 1
; LDSByteSize: 0 bytes/workgroup (compile time only)
; SGPRBlocks: 8
; VGPRBlocks: 3
; NumSGPRsForWavesPerEU: 65
; NumVGPRsForWavesPerEU: 26
; AccumOffset: 28
; Occupancy: 8
; WaveLimiterHint : 0
; COMPUTE_PGM_RSRC2:SCRATCH_EN: 0
; COMPUTE_PGM_RSRC2:USER_SGPR: 2
; COMPUTE_PGM_RSRC2:TRAP_HANDLER: 0
; COMPUTE_PGM_RSRC2:TGID_X_EN: 1
; COMPUTE_PGM_RSRC2:TGID_Y_EN: 0
; COMPUTE_PGM_RSRC2:TGID_Z_EN: 0
; COMPUTE_PGM_RSRC2:TIDIG_COMP_CNT: 0
; COMPUTE_PGM_RSRC3_GFX90A:ACCUM_OFFSET: 6
; COMPUTE_PGM_RSRC3_GFX90A:TG_SPLIT: 0
	.section	.text._ZN2at6native12_GLOBAL__N_122max_pool_backward_nhwcIddEEvPKT_PKlillliiiiiiiiiiiiiiiPS3_,"axG",@progbits,_ZN2at6native12_GLOBAL__N_122max_pool_backward_nhwcIddEEvPKT_PKlillliiiiiiiiiiiiiiiPS3_,comdat
	.globl	_ZN2at6native12_GLOBAL__N_122max_pool_backward_nhwcIddEEvPKT_PKlillliiiiiiiiiiiiiiiPS3_ ; -- Begin function _ZN2at6native12_GLOBAL__N_122max_pool_backward_nhwcIddEEvPKT_PKlillliiiiiiiiiiiiiiiPS3_
	.p2align	8
	.type	_ZN2at6native12_GLOBAL__N_122max_pool_backward_nhwcIddEEvPKT_PKlillliiiiiiiiiiiiiiiPS3_,@function
_ZN2at6native12_GLOBAL__N_122max_pool_backward_nhwcIddEEvPKT_PKlillliiiiiiiiiiiiiiiPS3_: ; @_ZN2at6native12_GLOBAL__N_122max_pool_backward_nhwcIddEEvPKT_PKlillliiiiiiiiiiiiiiiPS3_
; %bb.0:
	s_load_dword s40, s[0:1], 0x10
	s_load_dwordx4 s[8:11], s[0:1], 0x7c
	s_load_dwordx8 s[12:19], s[0:1], 0x30
	s_load_dwordx8 s[20:27], s[0:1], 0x50
	v_and_b32_e32 v6, 0x3ff, v0
	s_waitcnt lgkmcnt(0)
	v_cvt_f32_u32_e32 v1, s40
	v_bfe_u32 v2, v0, 10, 10
	v_bfe_u32 v3, v0, 20, 10
	s_lshr_b32 s62, s10, 16
	v_rcp_iflag_f32_e32 v1, v1
	s_and_b32 s27, s10, 0xffff
	v_mad_u32_u24 v7, v3, s62, v2
	s_sub_i32 s5, 0, s40
	v_mul_f32_e32 v0, 0x4f7ffffe, v1
	v_cvt_u32_f32_e32 v4, v0
	v_mad_u64_u32 v[0:1], s[6:7], v7, s27, v[6:7]
	s_and_b32 s33, s11, 0xffff
	v_readfirstlane_b32 s6, v4
	s_mul_i32 s5, s5, s6
	s_mul_hi_u32 s5, s6, s5
	s_add_i32 s6, s6, s5
	s_mul_i32 s5, s26, s27
	s_mul_i32 s5, s5, s62
	;; [unrolled: 1-line block ×3, first 2 shown]
	s_mul_hi_u32 s41, s2, s6
	v_cmp_gt_u32_e32 vcc, s5, v0
	s_and_saveexec_b64 s[6:7], vcc
	s_cbranch_execz .LBB16_3
; %bb.1:
	s_mul_i32 s28, s62, s27
	s_mul_i32 s28, s28, s33
	v_mov_b32_e32 v4, 0
	v_lshl_add_u32 v1, v0, 3, 0
	s_lshl_b32 s29, s28, 3
	s_mov_b64 s[10:11], 0
	v_mov_b32_e32 v5, v4
.LBB16_2:                               ; =>This Inner Loop Header: Depth=1
	v_add_u32_e32 v0, s28, v0
	v_cmp_le_u32_e32 vcc, s5, v0
	ds_write_b64 v1, v[4:5]
	s_or_b64 s[10:11], vcc, s[10:11]
	v_add_u32_e32 v1, s29, v1
	s_andn2_b64 exec, exec, s[10:11]
	s_cbranch_execnz .LBB16_2
.LBB16_3:
	s_or_b64 exec, exec, s[6:7]
	s_load_dwordx4 s[28:31], s[0:1], 0x18
	s_load_dwordx2 s[10:11], s[0:1], 0x28
	s_mov_b32 s5, s9
	s_mov_b32 s36, 0
	s_mov_b64 s[34:35], -1
	s_waitcnt lgkmcnt(0)
	s_add_u32 s6, s30, s9
	s_addc_u32 s7, s31, 0
	s_add_u32 s9, s6, -1
	s_addc_u32 s37, s7, -1
	s_cmp_lg_u64 s[36:37], 0
	s_barrier
	s_cbranch_scc0 .LBB16_60
; %bb.4:
	s_add_u32 s6, s5, 0
	s_addc_u32 s7, 0, 0
	s_xor_b64 s[6:7], s[6:7], 0
	v_cvt_f32_u32_e32 v0, s6
	v_cvt_f32_u32_e32 v1, s7
	s_sub_u32 s36, 0, s6
	s_subb_u32 s42, 0, s7
	v_fmamk_f32 v0, v1, 0x4f800000, v0
	v_rcp_f32_e32 v0, v0
	s_nop 0
	v_mul_f32_e32 v0, 0x5f7ffffc, v0
	v_mul_f32_e32 v1, 0x2f800000, v0
	v_trunc_f32_e32 v1, v1
	v_fmamk_f32 v0, v1, 0xcf800000, v0
	v_cvt_u32_f32_e32 v1, v1
	v_cvt_u32_f32_e32 v0, v0
	v_readfirstlane_b32 s43, v1
	v_readfirstlane_b32 s38, v0
	s_mul_i32 s39, s36, s43
	s_mul_hi_u32 s45, s36, s38
	s_mul_i32 s44, s42, s38
	s_add_i32 s39, s45, s39
	s_add_i32 s39, s39, s44
	s_mul_i32 s46, s36, s38
	s_mul_i32 s45, s38, s39
	s_mul_hi_u32 s47, s38, s46
	s_mul_hi_u32 s44, s38, s39
	s_add_u32 s45, s47, s45
	s_addc_u32 s44, 0, s44
	s_mul_hi_u32 s48, s43, s46
	s_mul_i32 s46, s43, s46
	s_add_u32 s45, s45, s46
	s_mul_hi_u32 s47, s43, s39
	s_addc_u32 s44, s44, s48
	s_addc_u32 s45, s47, 0
	s_mul_i32 s39, s43, s39
	s_add_u32 s39, s44, s39
	s_addc_u32 s44, 0, s45
	s_add_u32 s45, s38, s39
	s_cselect_b64 s[38:39], -1, 0
	s_cmp_lg_u64 s[38:39], 0
	s_addc_u32 s43, s43, s44
	s_mul_i32 s38, s36, s43
	s_mul_hi_u32 s39, s36, s45
	s_add_i32 s38, s39, s38
	s_mul_i32 s42, s42, s45
	s_add_i32 s38, s38, s42
	s_mul_i32 s36, s36, s45
	s_mul_hi_u32 s42, s43, s36
	s_mul_i32 s44, s43, s36
	s_mul_i32 s47, s45, s38
	s_mul_hi_u32 s36, s45, s36
	s_mul_hi_u32 s46, s45, s38
	s_add_u32 s36, s36, s47
	s_addc_u32 s46, 0, s46
	s_add_u32 s36, s36, s44
	s_mul_hi_u32 s39, s43, s38
	s_addc_u32 s36, s46, s42
	s_addc_u32 s39, s39, 0
	s_mul_i32 s38, s43, s38
	s_add_u32 s36, s36, s38
	s_addc_u32 s42, 0, s39
	s_add_u32 s44, s45, s36
	s_cselect_b64 s[38:39], -1, 0
	s_cmp_lg_u64 s[38:39], 0
	s_addc_u32 s42, s43, s42
	s_ashr_i32 s38, s37, 31
	s_add_u32 s36, s9, s38
	s_mov_b32 s39, s38
	s_addc_u32 s37, s37, s38
	s_xor_b64 s[36:37], s[36:37], s[38:39]
	s_mul_i32 s45, s36, s42
	s_mul_hi_u32 s46, s36, s44
	s_mul_hi_u32 s43, s36, s42
	s_add_u32 s45, s46, s45
	s_addc_u32 s43, 0, s43
	s_mul_hi_u32 s47, s37, s44
	s_mul_i32 s44, s37, s44
	s_add_u32 s44, s45, s44
	s_mul_hi_u32 s46, s37, s42
	s_addc_u32 s43, s43, s47
	s_addc_u32 s44, s46, 0
	s_mul_i32 s42, s37, s42
	s_add_u32 s46, s43, s42
	s_addc_u32 s47, 0, s44
	s_mul_i32 s42, s6, s47
	s_mul_hi_u32 s43, s6, s46
	s_add_i32 s42, s43, s42
	s_mul_i32 s43, s7, s46
	s_add_i32 s48, s42, s43
	s_sub_i32 s44, s37, s48
	s_mul_i32 s42, s6, s46
	s_sub_u32 s36, s36, s42
	s_cselect_b64 s[42:43], -1, 0
	s_cmp_lg_u64 s[42:43], 0
	s_subb_u32 s49, s44, s7
	s_sub_u32 s50, s36, s6
	s_cselect_b64 s[44:45], -1, 0
	s_cmp_lg_u64 s[44:45], 0
	s_subb_u32 s44, s49, 0
	s_cmp_ge_u32 s44, s7
	s_cselect_b32 s45, -1, 0
	s_cmp_ge_u32 s50, s6
	s_cselect_b32 s49, -1, 0
	s_cmp_eq_u32 s44, s7
	s_cselect_b32 s44, s49, s45
	s_add_u32 s45, s46, 1
	s_addc_u32 s49, s47, 0
	s_add_u32 s50, s46, 2
	s_addc_u32 s51, s47, 0
	s_cmp_lg_u32 s44, 0
	s_cselect_b32 s44, s50, s45
	s_cselect_b32 s45, s51, s49
	s_cmp_lg_u64 s[42:43], 0
	s_subb_u32 s37, s37, s48
	s_cmp_ge_u32 s37, s7
	s_cselect_b32 s42, -1, 0
	s_cmp_ge_u32 s36, s6
	s_cselect_b32 s6, -1, 0
	s_cmp_eq_u32 s37, s7
	s_cselect_b32 s6, s6, s42
	s_cmp_lg_u32 s6, 0
	s_cselect_b32 s7, s45, s47
	s_cselect_b32 s6, s44, s46
	s_xor_b64 s[36:37], s[38:39], 0
	s_xor_b64 s[6:7], s[6:7], s[36:37]
	s_sub_u32 s6, s6, s36
	s_subb_u32 s7, s7, s37
	s_cbranch_execnz .LBB16_6
.LBB16_5:
	v_cvt_f32_u32_e32 v0, s5
	s_sub_i32 s6, 0, s5
	s_mov_b32 s7, 0
	v_rcp_iflag_f32_e32 v0, v0
	s_nop 0
	v_mul_f32_e32 v0, 0x4f7ffffe, v0
	v_cvt_u32_f32_e32 v0, v0
	s_nop 0
	v_readfirstlane_b32 s34, v0
	s_mul_i32 s6, s6, s34
	s_mul_hi_u32 s6, s34, s6
	s_add_i32 s34, s34, s6
	s_mul_hi_u32 s6, s9, s34
	s_mul_i32 s35, s6, s5
	s_sub_i32 s9, s9, s35
	s_add_i32 s34, s6, 1
	s_sub_i32 s35, s9, s5
	s_cmp_ge_u32 s9, s5
	s_cselect_b32 s6, s34, s6
	s_cselect_b32 s9, s35, s9
	s_add_i32 s34, s6, 1
	s_cmp_ge_u32 s9, s5
	s_cselect_b32 s6, s34, s6
.LBB16_6:
	s_add_u32 s5, s10, s8
	s_addc_u32 s9, s11, 0
	s_add_u32 s5, s5, -1
	s_mov_b32 s38, 0
	s_addc_u32 s39, s9, -1
	s_cmp_lg_u64 s[38:39], 0
	s_mov_b64 s[34:35], -1
	s_cbranch_scc0 .LBB16_61
; %bb.7:
	s_add_u32 s34, s8, 0
	s_addc_u32 s35, 0, 0
	s_xor_b64 s[36:37], s[34:35], 0
	v_cvt_f32_u32_e32 v0, s36
	v_cvt_f32_u32_e32 v1, s37
	s_sub_u32 s9, 0, s36
	s_subb_u32 s38, 0, s37
	v_fmamk_f32 v0, v1, 0x4f800000, v0
	v_rcp_f32_e32 v0, v0
	s_nop 0
	v_mul_f32_e32 v0, 0x5f7ffffc, v0
	v_mul_f32_e32 v1, 0x2f800000, v0
	v_trunc_f32_e32 v1, v1
	v_fmamk_f32 v0, v1, 0xcf800000, v0
	v_cvt_u32_f32_e32 v1, v1
	v_cvt_u32_f32_e32 v0, v0
	v_readfirstlane_b32 s44, v1
	v_readfirstlane_b32 s42, v0
	s_mul_i32 s43, s9, s44
	s_mul_hi_u32 s46, s9, s42
	s_mul_i32 s45, s38, s42
	s_add_i32 s43, s46, s43
	s_add_i32 s43, s43, s45
	s_mul_i32 s47, s9, s42
	s_mul_i32 s46, s42, s43
	s_mul_hi_u32 s48, s42, s47
	s_mul_hi_u32 s45, s42, s43
	s_add_u32 s46, s48, s46
	s_addc_u32 s45, 0, s45
	s_mul_hi_u32 s49, s44, s47
	s_mul_i32 s47, s44, s47
	s_add_u32 s46, s46, s47
	s_mul_hi_u32 s48, s44, s43
	s_addc_u32 s45, s45, s49
	s_addc_u32 s46, s48, 0
	s_mul_i32 s43, s44, s43
	s_add_u32 s43, s45, s43
	s_addc_u32 s45, 0, s46
	s_add_u32 s46, s42, s43
	s_cselect_b64 s[42:43], -1, 0
	s_cmp_lg_u64 s[42:43], 0
	s_addc_u32 s44, s44, s45
	s_mul_i32 s42, s9, s44
	s_mul_hi_u32 s43, s9, s46
	s_add_i32 s42, s43, s42
	s_mul_i32 s38, s38, s46
	s_add_i32 s42, s42, s38
	s_mul_i32 s9, s9, s46
	s_mul_hi_u32 s43, s44, s9
	s_mul_i32 s45, s44, s9
	s_mul_i32 s48, s46, s42
	s_mul_hi_u32 s9, s46, s9
	s_mul_hi_u32 s47, s46, s42
	s_add_u32 s9, s9, s48
	s_addc_u32 s47, 0, s47
	s_add_u32 s9, s9, s45
	s_mul_hi_u32 s38, s44, s42
	s_addc_u32 s9, s47, s43
	s_addc_u32 s38, s38, 0
	s_mul_i32 s42, s44, s42
	s_add_u32 s9, s9, s42
	s_addc_u32 s38, 0, s38
	s_add_u32 s9, s46, s9
	s_cselect_b64 s[42:43], -1, 0
	s_cmp_lg_u64 s[42:43], 0
	s_addc_u32 s44, s44, s38
	s_ashr_i32 s42, s39, 31
	s_add_u32 s38, s5, s42
	s_mov_b32 s43, s42
	s_addc_u32 s39, s39, s42
	s_xor_b64 s[38:39], s[38:39], s[42:43]
	s_mul_i32 s46, s38, s44
	s_mul_hi_u32 s47, s38, s9
	s_mul_hi_u32 s45, s38, s44
	s_add_u32 s46, s47, s46
	s_addc_u32 s45, 0, s45
	s_mul_hi_u32 s48, s39, s9
	s_mul_i32 s9, s39, s9
	s_add_u32 s9, s46, s9
	s_mul_hi_u32 s47, s39, s44
	s_addc_u32 s9, s45, s48
	s_addc_u32 s45, s47, 0
	s_mul_i32 s44, s39, s44
	s_add_u32 s9, s9, s44
	s_addc_u32 s48, 0, s45
	s_mul_i32 s44, s36, s48
	s_mul_hi_u32 s45, s36, s9
	s_add_i32 s44, s45, s44
	s_mul_i32 s45, s37, s9
	s_add_i32 s49, s44, s45
	s_sub_i32 s46, s39, s49
	s_mul_i32 s44, s36, s9
	s_sub_u32 s38, s38, s44
	s_cselect_b64 s[44:45], -1, 0
	s_cmp_lg_u64 s[44:45], 0
	s_subb_u32 s50, s46, s37
	s_sub_u32 s51, s38, s36
	s_cselect_b64 s[46:47], -1, 0
	s_cmp_lg_u64 s[46:47], 0
	s_subb_u32 s46, s50, 0
	s_cmp_ge_u32 s46, s37
	s_cselect_b32 s47, -1, 0
	s_cmp_ge_u32 s51, s36
	s_cselect_b32 s50, -1, 0
	s_cmp_eq_u32 s46, s37
	s_cselect_b32 s46, s50, s47
	s_add_u32 s47, s9, 1
	s_addc_u32 s50, s48, 0
	s_add_u32 s51, s9, 2
	s_addc_u32 s52, s48, 0
	s_cmp_lg_u32 s46, 0
	s_cselect_b32 s46, s51, s47
	s_cselect_b32 s47, s52, s50
	s_cmp_lg_u64 s[44:45], 0
	s_subb_u32 s39, s39, s49
	s_cmp_ge_u32 s39, s37
	s_cselect_b32 s44, -1, 0
	s_cmp_ge_u32 s38, s36
	s_cselect_b32 s36, -1, 0
	s_cmp_eq_u32 s39, s37
	s_cselect_b32 s36, s36, s44
	s_cmp_lg_u32 s36, 0
	s_cselect_b32 s37, s47, s48
	s_cselect_b32 s36, s46, s9
	s_xor_b64 s[38:39], s[42:43], 0
	s_xor_b64 s[36:37], s[36:37], s[38:39]
	s_sub_u32 s36, s36, s38
	s_subb_u32 s37, s37, s39
	s_cbranch_execnz .LBB16_9
.LBB16_8:
	v_cvt_f32_u32_e32 v0, s8
	s_sub_i32 s9, 0, s8
	s_mov_b32 s37, 0
	v_rcp_iflag_f32_e32 v0, v0
	s_nop 0
	v_mul_f32_e32 v0, 0x4f7ffffe, v0
	v_cvt_u32_f32_e32 v0, v0
	s_nop 0
	v_readfirstlane_b32 s34, v0
	s_mul_i32 s9, s9, s34
	s_mul_hi_u32 s9, s34, s9
	s_add_i32 s34, s34, s9
	s_mul_hi_u32 s9, s5, s34
	s_mul_i32 s35, s9, s8
	s_sub_i32 s5, s5, s35
	s_add_i32 s34, s9, 1
	s_sub_i32 s35, s5, s8
	s_cmp_ge_u32 s5, s8
	s_cselect_b32 s9, s34, s9
	s_cselect_b32 s5, s35, s5
	s_add_i32 s34, s9, 1
	s_cmp_ge_u32 s5, s8
	s_cselect_b32 s36, s34, s9
.LBB16_9:
	s_mul_i32 s4, s4, s6
	v_add_u32_e32 v0, s4, v3
	v_ashrrev_i32_e32 v1, 31, v0
	s_bfe_i64 s[4:5], s[6:7], 0x200000
	v_lshl_add_u64 v[4:5], s[4:5], 0, v[0:1]
	v_mov_b32_e32 v1, s30
	v_cmp_gt_i64_e32 vcc, s[30:31], v[4:5]
	s_nop 1
	v_cndmask_b32_e32 v1, v1, v4, vcc
	v_cmp_lt_i32_e32 vcc, v0, v1
	s_and_saveexec_b64 s[4:5], vcc
	s_cbranch_execz .LBB16_59
; %bb.10:
	s_mul_i32 s3, s3, s36
	v_add_u32_e32 v2, s3, v2
	v_ashrrev_i32_e32 v3, 31, v2
	s_bfe_i64 s[4:5], s[36:37], 0x200000
	v_lshl_add_u64 v[4:5], s[4:5], 0, v[2:3]
	s_load_dwordx4 s[4:7], s[0:1], 0x0
	s_load_dwordx2 s[8:9], s[0:1], 0x70
	s_mul_i32 s0, s41, s40
	s_sub_i32 s0, s2, s0
	s_add_i32 s1, s41, 1
	s_sub_i32 s3, s0, s40
	s_cmp_ge_u32 s0, s40
	s_cselect_b32 s1, s1, s41
	s_cselect_b32 s0, s3, s0
	s_add_i32 s3, s1, 1
	s_cmp_ge_u32 s0, s40
	s_cselect_b32 s3, s3, s1
	s_mul_i32 s1, s30, s29
	s_mul_hi_u32 s34, s30, s28
	s_add_i32 s1, s34, s1
	s_mul_i32 s31, s31, s28
	s_mul_i32 s30, s30, s28
	v_cmp_gt_i64_e32 vcc, s[10:11], v[4:5]
	s_mul_i32 s0, s3, s40
	s_add_i32 s1, s1, s31
	s_mul_i32 s11, s30, s11
	s_mul_hi_u32 s31, s30, s10
	s_sub_i32 s2, s2, s0
	s_add_i32 s11, s31, s11
	s_mul_i32 s1, s1, s10
	s_ashr_i32 s0, s2, 31
	s_add_i32 s1, s11, s1
	s_mul_i32 s11, s30, s10
	s_mul_i32 s0, s11, s0
	s_mul_hi_u32 s30, s11, s2
	s_mul_i32 s1, s1, s2
	s_add_i32 s0, s30, s0
	s_add_i32 s1, s0, s1
	s_mul_i32 s0, s11, s2
	s_lshl_b64 s[0:1], s[0:1], 3
	s_waitcnt lgkmcnt(0)
	s_add_u32 s30, s8, s0
	s_mul_i32 s0, s13, s12
	s_mul_i32 s0, s0, s2
	s_addc_u32 s31, s9, s1
	s_ashr_i32 s1, s0, 31
	s_mul_i32 s1, s28, s1
	s_mul_hi_u32 s2, s28, s0
	s_add_i32 s1, s2, s1
	s_mul_i32 s2, s29, s0
	s_add_i32 s1, s1, s2
	s_mul_i32 s0, s28, s0
	s_lshl_b64 s[0:1], s[0:1], 3
	s_add_u32 s34, s6, s0
	s_addc_u32 s35, s7, s1
	s_add_u32 s36, s4, s0
	s_addc_u32 s37, s5, s1
	s_abs_i32 s64, s16
	v_cvt_f32_u32_e32 v5, s64
	s_abs_i32 s68, s17
	v_cvt_f32_u32_e32 v9, s68
	s_sub_i32 s2, 0, s64
	v_rcp_iflag_f32_e32 v8, v5
	v_mov_b32_e32 v3, s10
	v_rcp_iflag_f32_e32 v9, v9
	s_mul_i32 s0, s3, s27
	v_mul_f32_e32 v8, 0x4f7ffffe, v8
	v_cvt_u32_f32_e32 v8, v8
	v_cndmask_b32_e32 v3, v3, v4, vcc
	v_add_u32_e32 v4, s0, v6
	s_add_i32 s0, s14, -1
	v_mul_lo_u32 v10, s2, v8
	v_mul_hi_u32 v10, v8, v10
	v_add_u32_e32 v34, v8, v10
	v_mul_f32_e32 v8, 0x4f7ffffe, v9
	v_cvt_u32_f32_e32 v8, v8
	s_sub_i32 s2, 0, s68
	v_mul_lo_u32 v7, s26, v7
	s_mul_i32 s11, s20, s0
	v_mul_lo_u32 v9, s2, v8
	s_add_i32 s2, s3, s25
	s_add_i32 s0, s15, -1
	s_mul_i32 s2, s2, s27
	v_mul_lo_u32 v7, v7, s27
	s_mul_i32 s65, s21, s0
	v_ashrrev_i32_e32 v5, 31, v4
	s_mul_i32 s67, s25, s27
	v_mov_b32_e32 v48, 0
	v_mul_hi_u32 v9, v8, v9
	v_add_u32_e32 v37, s2, v6
	v_lshlrev_b32_e32 v7, 3, v7
	v_lshlrev_b32_e32 v6, 3, v6
	s_not_b32 s63, s11
	v_cmp_lt_i32_e32 vcc, v2, v3
	s_not_b32 s66, s65
	v_cmp_gt_i64_e64 s[0:1], s[28:29], v[4:5]
	s_ashr_i32 s69, s16, 31
	s_ashr_i32 s70, s17, 31
	v_add_u32_e32 v35, v8, v9
	v_mul_lo_u32 v36, s22, v4
	s_mul_i32 s22, s67, s22
	v_add3_u32 v38, v7, v6, 0
	s_lshl_b32 s25, s27, 3
	s_mov_b64 s[14:15], 0
	v_mov_b32_e32 v49, v48
                                        ; implicit-def: $vgpr6_vgpr7
                                        ; implicit-def: $vgpr8_vgpr9
                                        ; implicit-def: $vgpr10_vgpr11
                                        ; implicit-def: $vgpr12_vgpr13
	s_branch .LBB16_13
.LBB16_11:                              ;   in Loop: Header=BB16_13 Depth=1
	s_or_b64 exec, exec, s[20:21]
.LBB16_12:                              ;   in Loop: Header=BB16_13 Depth=1
	s_or_b64 exec, exec, s[16:17]
	v_add_u32_e32 v0, s33, v0
	v_cmp_ge_i32_e64 s[2:3], v0, v1
	s_or_b64 s[14:15], s[2:3], s[14:15]
	s_andn2_b64 exec, exec, s[14:15]
	s_cbranch_execz .LBB16_59
.LBB16_13:                              ; =>This Loop Header: Depth=1
                                        ;     Child Loop BB16_19 Depth 2
                                        ;       Child Loop BB16_28 Depth 3
                                        ;         Child Loop BB16_31 Depth 4
                                        ;           Child Loop BB16_34 Depth 5
                                        ;       Child Loop BB16_40 Depth 3
                                        ;       Child Loop BB16_51 Depth 3
	;; [unrolled: 1-line block ×3, first 2 shown]
	v_add_u32_e32 v14, s18, v0
	v_cmp_lt_i32_e64 s[2:3], s11, v14
	v_mov_b32_e32 v39, 0
	s_and_saveexec_b64 s[4:5], s[2:3]
	s_cbranch_execz .LBB16_15
; %bb.14:                               ;   in Loop: Header=BB16_13 Depth=1
	v_add_u32_e32 v15, s63, v14
	v_sub_u32_e32 v17, 0, v15
	v_ashrrev_i32_e32 v16, 31, v15
	v_max_i32_e32 v15, v15, v17
	v_mul_hi_u32 v17, v15, v34
	v_mul_lo_u32 v18, v17, s64
	v_sub_u32_e32 v15, v15, v18
	v_add_u32_e32 v18, 1, v17
	v_cmp_le_u32_e64 s[2:3], s64, v15
	v_xor_b32_e32 v16, s69, v16
	s_nop 0
	v_cndmask_b32_e64 v17, v17, v18, s[2:3]
	v_subrev_u32_e32 v18, s64, v15
	v_cndmask_b32_e64 v15, v15, v18, s[2:3]
	v_add_u32_e32 v18, 1, v17
	v_cmp_le_u32_e64 s[2:3], s64, v15
	s_nop 1
	v_cndmask_b32_e64 v15, v17, v18, s[2:3]
	v_xor_b32_e32 v15, v15, v16
	v_sub_u32_e32 v15, v15, v16
	v_add_u32_e32 v39, 1, v15
.LBB16_15:                              ;   in Loop: Header=BB16_13 Depth=1
	s_or_b64 exec, exec, s[4:5]
	s_and_saveexec_b64 s[16:17], vcc
	s_cbranch_execz .LBB16_12
; %bb.16:                               ;   in Loop: Header=BB16_13 Depth=1
	v_sub_u32_e32 v16, 0, v14
	v_ashrrev_i32_e32 v15, 31, v14
	v_max_i32_e32 v14, v14, v16
	v_mul_hi_u32 v16, v14, v34
	v_mul_lo_u32 v17, v16, s64
	v_sub_u32_e32 v14, v14, v17
	v_add_u32_e32 v17, 1, v16
	v_cmp_le_u32_e64 s[2:3], s64, v14
	v_xor_b32_e32 v15, s69, v15
	v_add_u32_e32 v20, 1, v39
	v_cndmask_b32_e64 v16, v16, v17, s[2:3]
	v_subrev_u32_e32 v17, s64, v14
	v_cndmask_b32_e64 v14, v14, v17, s[2:3]
	v_add_u32_e32 v17, 1, v16
	v_cmp_le_u32_e64 s[2:3], s64, v14
	v_mul_lo_u32 v41, v0, s10
	v_mul_lo_u32 v42, s23, v20
	v_cndmask_b32_e64 v14, v16, v17, s[2:3]
	v_xor_b32_e32 v14, v14, v15
	v_sub_u32_e32 v14, v14, v15
	v_add_u32_e32 v14, 1, v14
	v_min_i32_e32 v40, s12, v14
	v_sub_u32_e32 v14, v40, v39
	v_cmp_gt_i32_e64 s[8:9], 3, v14
	v_mul_lo_u32 v14, v39, s23
	v_cmp_eq_u32_e64 s[6:7], v20, v40
	v_ashrrev_i32_e32 v15, 31, v14
	v_add_u32_e32 v18, s23, v14
	v_cmp_gt_i32_e64 s[2:3], v40, v39
	v_lshl_add_u64 v[16:17], v[14:15], 3, s[34:35]
	v_cmp_lt_i32_e64 s[4:5], v20, v40
	v_ashrrev_i32_e32 v19, 31, v18
	s_mov_b64 s[20:21], 0
	s_xor_b64 s[26:27], s[6:7], -1
	s_xor_b64 s[38:39], s[8:9], -1
	v_mov_b32_e32 v43, v2
	s_branch .LBB16_19
.LBB16_17:                              ;   in Loop: Header=BB16_19 Depth=2
	s_or_b64 exec, exec, s[40:41]
.LBB16_18:                              ;   in Loop: Header=BB16_19 Depth=2
	s_or_b64 exec, exec, s[8:9]
	v_add_u32_e32 v43, s62, v43
	v_cmp_ge_i32_e64 s[6:7], v43, v3
	s_or_b64 s[20:21], s[6:7], s[20:21]
	s_andn2_b64 exec, exec, s[20:21]
	s_cbranch_execz .LBB16_11
.LBB16_19:                              ;   Parent Loop BB16_13 Depth=1
                                        ; =>  This Loop Header: Depth=2
                                        ;       Child Loop BB16_28 Depth 3
                                        ;         Child Loop BB16_31 Depth 4
                                        ;           Child Loop BB16_34 Depth 5
                                        ;       Child Loop BB16_40 Depth 3
                                        ;       Child Loop BB16_51 Depth 3
	;; [unrolled: 1-line block ×3, first 2 shown]
	v_add_u32_e32 v20, s19, v43
	v_cmp_lt_i32_e64 s[6:7], s65, v20
	v_mov_b32_e32 v32, 0
	s_and_saveexec_b64 s[8:9], s[6:7]
	s_cbranch_execz .LBB16_21
; %bb.20:                               ;   in Loop: Header=BB16_19 Depth=2
	v_add_u32_e32 v21, s66, v20
	v_sub_u32_e32 v23, 0, v21
	v_ashrrev_i32_e32 v22, 31, v21
	v_max_i32_e32 v21, v21, v23
	v_mul_hi_u32 v23, v21, v35
	v_mul_lo_u32 v24, v23, s68
	v_sub_u32_e32 v21, v21, v24
	v_add_u32_e32 v24, 1, v23
	v_cmp_le_u32_e64 s[6:7], s68, v21
	v_xor_b32_e32 v22, s70, v22
	s_nop 0
	v_cndmask_b32_e64 v23, v23, v24, s[6:7]
	v_subrev_u32_e32 v24, s68, v21
	v_cndmask_b32_e64 v21, v21, v24, s[6:7]
	v_add_u32_e32 v24, 1, v23
	v_cmp_le_u32_e64 s[6:7], s68, v21
	s_nop 1
	v_cndmask_b32_e64 v21, v23, v24, s[6:7]
	v_xor_b32_e32 v21, v21, v22
	v_sub_u32_e32 v21, v21, v22
	v_add_u32_e32 v32, 1, v21
.LBB16_21:                              ;   in Loop: Header=BB16_19 Depth=2
	s_or_b64 exec, exec, s[8:9]
	v_sub_u32_e32 v22, 0, v20
	v_ashrrev_i32_e32 v21, 31, v20
	v_max_i32_e32 v20, v20, v22
	v_mul_hi_u32 v22, v20, v35
	v_mul_lo_u32 v23, v22, s68
	v_sub_u32_e32 v20, v20, v23
	v_add_u32_e32 v23, 1, v22
	v_cmp_le_u32_e64 s[6:7], s68, v20
	v_xor_b32_e32 v21, s70, v21
	s_nop 0
	v_cndmask_b32_e64 v22, v22, v23, s[6:7]
	v_subrev_u32_e32 v23, s68, v20
	v_cndmask_b32_e64 v20, v20, v23, s[6:7]
	v_add_u32_e32 v23, 1, v22
	v_cmp_le_u32_e64 s[6:7], s68, v20
	s_nop 1
	v_cndmask_b32_e64 v20, v22, v23, s[6:7]
	v_xor_b32_e32 v20, v20, v21
	v_sub_u32_e32 v20, v20, v21
	v_add_u32_e32 v20, 1, v20
	v_min_i32_e32 v33, s13, v20
	v_add_u32_e32 v21, 1, v32
	v_cmp_ne_u32_e64 s[6:7], v21, v33
	v_add_u32_e32 v20, v43, v41
	s_or_b64 s[6:7], s[26:27], s[6:7]
	s_and_saveexec_b64 s[8:9], s[6:7]
	s_xor_b64 s[40:41], exec, s[8:9]
	s_cbranch_execz .LBB16_53
; %bb.22:                               ;   in Loop: Header=BB16_19 Depth=2
	v_sub_u32_e32 v22, v33, v32
	v_cmp_lt_i32_e64 s[6:7], 2, v22
	s_or_b64 s[6:7], s[38:39], s[6:7]
	s_and_saveexec_b64 s[8:9], s[6:7]
	s_xor_b64 s[42:43], exec, s[8:9]
	s_cbranch_execnz .LBB16_25
; %bb.23:                               ;   in Loop: Header=BB16_19 Depth=2
	s_andn2_saveexec_b64 s[42:43], s[42:43]
	s_cbranch_execnz .LBB16_37
.LBB16_24:                              ;   in Loop: Header=BB16_19 Depth=2
	s_or_b64 exec, exec, s[42:43]
	s_and_saveexec_b64 s[8:9], s[0:1]
	s_cbranch_execnz .LBB16_50
	s_branch .LBB16_52
.LBB16_25:                              ;   in Loop: Header=BB16_19 Depth=2
	s_and_saveexec_b64 s[44:45], s[2:3]
	s_cbranch_execz .LBB16_36
; %bb.26:                               ;   in Loop: Header=BB16_19 Depth=2
	v_mad_u64_u32 v[22:23], s[8:9], s24, v32, v[14:15]
	v_cmp_gt_i32_e64 s[6:7], v33, v32
	v_ashrrev_i32_e32 v21, 31, v20
	s_mov_b64 s[46:47], 0
	v_mov_b32_e32 v23, v39
	s_branch .LBB16_28
.LBB16_27:                              ;   in Loop: Header=BB16_28 Depth=3
	s_or_b64 exec, exec, s[48:49]
	v_add_u32_e32 v23, 1, v23
	v_cmp_ge_i32_e64 s[8:9], v23, v40
	s_or_b64 s[46:47], s[8:9], s[46:47]
	v_add_u32_e32 v22, s23, v22
	s_andn2_b64 exec, exec, s[46:47]
	s_cbranch_execz .LBB16_36
.LBB16_28:                              ;   Parent Loop BB16_13 Depth=1
                                        ;     Parent Loop BB16_19 Depth=2
                                        ; =>    This Loop Header: Depth=3
                                        ;         Child Loop BB16_31 Depth 4
                                        ;           Child Loop BB16_34 Depth 5
	s_and_saveexec_b64 s[48:49], s[6:7]
	s_cbranch_execz .LBB16_27
; %bb.29:                               ;   in Loop: Header=BB16_28 Depth=3
	v_mul_lo_u32 v24, v23, s23
	v_ashrrev_i32_e32 v25, 31, v24
	v_lshl_add_u64 v[24:25], v[24:25], 3, s[34:35]
	s_mov_b64 s[50:51], 0
	v_mov_b32_e32 v44, v22
	v_mov_b32_e32 v45, v32
	s_branch .LBB16_31
.LBB16_30:                              ;   in Loop: Header=BB16_31 Depth=4
	s_or_b64 exec, exec, s[52:53]
	v_add_u32_e32 v45, 1, v45
	v_cmp_ge_i32_e64 s[8:9], v45, v33
	s_or_b64 s[50:51], s[8:9], s[50:51]
	v_add_u32_e32 v44, s24, v44
	s_andn2_b64 exec, exec, s[50:51]
	s_cbranch_execz .LBB16_27
.LBB16_31:                              ;   Parent Loop BB16_13 Depth=1
                                        ;     Parent Loop BB16_19 Depth=2
                                        ;       Parent Loop BB16_28 Depth=3
                                        ; =>      This Loop Header: Depth=4
                                        ;           Child Loop BB16_34 Depth 5
	s_and_saveexec_b64 s[52:53], s[0:1]
	s_cbranch_execz .LBB16_30
; %bb.32:                               ;   in Loop: Header=BB16_31 Depth=4
	v_mul_lo_u32 v26, v45, s24
	v_ashrrev_i32_e32 v27, 31, v26
	v_lshl_add_u64 v[26:27], v[26:27], 3, v[24:25]
	s_mov_b64 s[54:55], 0
	v_mov_b32_e32 v46, v38
	v_mov_b32_e32 v28, v37
	;; [unrolled: 1-line block ×3, first 2 shown]
	s_branch .LBB16_34
.LBB16_33:                              ;   in Loop: Header=BB16_34 Depth=5
	s_or_b64 exec, exec, s[56:57]
	v_ashrrev_i32_e32 v29, 31, v28
	v_cmp_le_i64_e64 s[8:9], s[28:29], v[28:29]
	v_add_u32_e32 v30, s22, v30
	v_add_u32_e32 v28, s67, v28
	s_or_b64 s[54:55], s[8:9], s[54:55]
	v_add_u32_e32 v46, s25, v46
	s_andn2_b64 exec, exec, s[54:55]
	s_cbranch_execz .LBB16_30
.LBB16_34:                              ;   Parent Loop BB16_13 Depth=1
                                        ;     Parent Loop BB16_19 Depth=2
                                        ;       Parent Loop BB16_28 Depth=3
                                        ;         Parent Loop BB16_31 Depth=4
                                        ; =>        This Inner Loop Header: Depth=5
	v_ashrrev_i32_e32 v31, 31, v30
	v_lshl_add_u64 v[50:51], v[30:31], 3, v[26:27]
	global_load_dwordx2 v[50:51], v[50:51], off
	s_waitcnt vmcnt(0)
	v_cmp_eq_u64_e64 s[8:9], v[50:51], v[20:21]
	s_and_saveexec_b64 s[56:57], s[8:9]
	s_cbranch_execz .LBB16_33
; %bb.35:                               ;   in Loop: Header=BB16_34 Depth=5
	v_add_u32_e32 v50, v44, v30
	v_ashrrev_i32_e32 v51, 31, v50
	v_lshl_add_u64 v[50:51], v[50:51], 3, s[36:37]
	global_load_dwordx2 v[50:51], v[50:51], off
	ds_read_b64 v[52:53], v46
	s_waitcnt vmcnt(0) lgkmcnt(0)
	v_add_f64 v[50:51], v[50:51], v[52:53]
	ds_write_b64 v46, v[50:51]
	s_branch .LBB16_33
.LBB16_36:                              ;   in Loop: Header=BB16_19 Depth=2
	s_or_b64 exec, exec, s[44:45]
                                        ; implicit-def: $vgpr33
                                        ; implicit-def: $vgpr32
                                        ; implicit-def: $vgpr21
	s_andn2_saveexec_b64 s[42:43], s[42:43]
	s_cbranch_execz .LBB16_24
.LBB16_37:                              ;   in Loop: Header=BB16_19 Depth=2
	s_and_saveexec_b64 s[44:45], s[0:1]
	s_cbranch_execz .LBB16_49
; %bb.38:                               ;   in Loop: Header=BB16_19 Depth=2
	v_mul_lo_u32 v22, v32, s24
	v_cmp_gt_i32_e64 s[6:7], v33, v32
	v_cmp_lt_i32_e64 s[8:9], v21, v33
	v_add_u32_e32 v24, s24, v22
	s_and_b64 s[46:47], s[2:3], s[6:7]
	v_ashrrev_i32_e32 v23, 31, v22
	s_and_b64 s[48:49], s[2:3], s[8:9]
	v_ashrrev_i32_e32 v25, 31, v24
	s_and_b64 s[50:51], s[4:5], s[6:7]
	s_and_b64 s[8:9], s[4:5], s[8:9]
	v_add_u32_e32 v21, v42, v24
	v_add_u32_e32 v44, v42, v22
	;; [unrolled: 1-line block ×4, first 2 shown]
	s_mov_b64 s[52:53], 0
	v_mov_b32_e32 v47, v38
	v_mov_b32_e32 v26, v37
	;; [unrolled: 1-line block ×3, first 2 shown]
	s_branch .LBB16_40
.LBB16_39:                              ;   in Loop: Header=BB16_40 Depth=3
	s_or_b64 exec, exec, s[60:61]
	s_waitcnt vmcnt(0)
	v_add_f64 v[30:31], v[12:13], 0
	v_cndmask_b32_e64 v31, 0, v31, s[54:55]
	v_cndmask_b32_e64 v30, 0, v30, s[54:55]
	v_add_f64 v[32:33], v[30:31], v[10:11]
	v_cndmask_b32_e64 v31, v31, v33, s[58:59]
	v_cndmask_b32_e64 v30, v30, v32, s[58:59]
	ds_read_b64 v[50:51], v47
	v_add_f64 v[32:33], v[30:31], v[8:9]
	v_cndmask_b32_e64 v31, v31, v33, s[56:57]
	v_cndmask_b32_e64 v30, v30, v32, s[56:57]
	v_add_f64 v[32:33], v[30:31], v[6:7]
	v_cndmask_b32_e64 v31, v31, v33, s[6:7]
	v_cndmask_b32_e64 v30, v30, v32, s[6:7]
	v_ashrrev_i32_e32 v27, 31, v26
	s_waitcnt lgkmcnt(0)
	v_add_f64 v[30:31], v[30:31], v[50:51]
	v_cmp_le_i64_e64 s[6:7], s[28:29], v[26:27]
	ds_write_b64 v47, v[30:31]
	v_add_u32_e32 v28, s22, v28
	v_add_u32_e32 v26, s67, v26
	s_or_b64 s[52:53], s[6:7], s[52:53]
	v_add_u32_e32 v47, s25, v47
	s_andn2_b64 exec, exec, s[52:53]
	s_cbranch_execz .LBB16_48
.LBB16_40:                              ;   Parent Loop BB16_13 Depth=1
                                        ;     Parent Loop BB16_19 Depth=2
                                        ; =>    This Inner Loop Header: Depth=3
	v_ashrrev_i32_e32 v29, 31, v28
	v_lshl_add_u64 v[30:31], v[28:29], 3, s[34:35]
	v_lshl_add_u64 v[32:33], v[14:15], 3, v[30:31]
	s_mov_b64 s[54:55], 0
	s_and_saveexec_b64 s[56:57], s[46:47]
	s_cbranch_execz .LBB16_42
; %bb.41:                               ;   in Loop: Header=BB16_40 Depth=3
	v_lshl_add_u64 v[12:13], v[22:23], 3, v[32:33]
	global_load_dword v27, v[12:13], off
	v_add_u32_e32 v12, v46, v28
	v_ashrrev_i32_e32 v13, 31, v12
	v_lshl_add_u64 v[12:13], v[12:13], 3, s[36:37]
	global_load_dwordx2 v[12:13], v[12:13], off
	s_waitcnt vmcnt(1)
	v_cmp_eq_u32_e64 s[6:7], v20, v27
	s_and_b64 s[54:55], s[6:7], exec
.LBB16_42:                              ;   in Loop: Header=BB16_40 Depth=3
	s_or_b64 exec, exec, s[56:57]
	s_mov_b64 s[56:57], 0
	s_mov_b64 s[58:59], 0
	s_and_saveexec_b64 s[60:61], s[48:49]
	s_cbranch_execnz .LBB16_45
; %bb.43:                               ;   in Loop: Header=BB16_40 Depth=3
	s_or_b64 exec, exec, s[60:61]
	v_lshl_add_u64 v[30:31], v[18:19], 3, v[30:31]
	s_and_saveexec_b64 s[60:61], s[50:51]
	s_cbranch_execnz .LBB16_46
.LBB16_44:                              ;   in Loop: Header=BB16_40 Depth=3
	s_or_b64 exec, exec, s[60:61]
	s_mov_b64 s[6:7], 0
	s_and_saveexec_b64 s[60:61], s[8:9]
	s_cbranch_execz .LBB16_39
	s_branch .LBB16_47
.LBB16_45:                              ;   in Loop: Header=BB16_40 Depth=3
	v_lshl_add_u64 v[10:11], v[24:25], 3, v[32:33]
	global_load_dword v27, v[10:11], off
	v_add_u32_e32 v10, v45, v28
	v_ashrrev_i32_e32 v11, 31, v10
	v_lshl_add_u64 v[10:11], v[10:11], 3, s[36:37]
	global_load_dwordx2 v[10:11], v[10:11], off
	s_waitcnt vmcnt(1)
	v_cmp_eq_u32_e64 s[6:7], v20, v27
	s_and_b64 s[58:59], s[6:7], exec
	s_or_b64 exec, exec, s[60:61]
	v_lshl_add_u64 v[30:31], v[18:19], 3, v[30:31]
	s_and_saveexec_b64 s[60:61], s[50:51]
	s_cbranch_execz .LBB16_44
.LBB16_46:                              ;   in Loop: Header=BB16_40 Depth=3
	v_lshl_add_u64 v[8:9], v[22:23], 3, v[30:31]
	global_load_dword v27, v[8:9], off
	v_add_u32_e32 v8, v44, v28
	v_ashrrev_i32_e32 v9, 31, v8
	v_lshl_add_u64 v[8:9], v[8:9], 3, s[36:37]
	global_load_dwordx2 v[8:9], v[8:9], off
	s_waitcnt vmcnt(1)
	v_cmp_eq_u32_e64 s[6:7], v20, v27
	s_and_b64 s[56:57], s[6:7], exec
	s_or_b64 exec, exec, s[60:61]
	s_mov_b64 s[6:7], 0
	s_and_saveexec_b64 s[60:61], s[8:9]
	s_cbranch_execz .LBB16_39
.LBB16_47:                              ;   in Loop: Header=BB16_40 Depth=3
	v_lshl_add_u64 v[6:7], v[24:25], 3, v[30:31]
	global_load_dword v27, v[6:7], off
	v_add_u32_e32 v6, v21, v28
	v_ashrrev_i32_e32 v7, 31, v6
	v_lshl_add_u64 v[6:7], v[6:7], 3, s[36:37]
	global_load_dwordx2 v[6:7], v[6:7], off
	s_waitcnt vmcnt(1)
	v_cmp_eq_u32_e64 s[6:7], v20, v27
	s_and_b64 s[6:7], s[6:7], exec
	s_branch .LBB16_39
.LBB16_48:                              ;   in Loop: Header=BB16_19 Depth=2
	s_or_b64 exec, exec, s[52:53]
.LBB16_49:                              ;   in Loop: Header=BB16_19 Depth=2
	s_or_b64 exec, exec, s[44:45]
	s_or_b64 exec, exec, s[42:43]
	s_and_saveexec_b64 s[8:9], s[0:1]
	s_cbranch_execz .LBB16_52
.LBB16_50:                              ;   in Loop: Header=BB16_19 Depth=2
	v_ashrrev_i32_e32 v21, 31, v20
	v_mul_lo_u32 v22, s29, v20
	v_mul_lo_u32 v23, s28, v21
	v_mad_u64_u32 v[20:21], s[6:7], s28, v20, 0
	v_add3_u32 v21, v21, v23, v22
	v_lshl_add_u64 v[20:21], v[20:21], 3, s[30:31]
	s_mov_b64 s[42:43], 0
	v_mov_b32_e32 v26, v38
	v_mov_b32_e32 v22, v37
	v_mov_b64_e32 v[24:25], v[4:5]
.LBB16_51:                              ;   Parent Loop BB16_13 Depth=1
                                        ;     Parent Loop BB16_19 Depth=2
                                        ; =>    This Inner Loop Header: Depth=3
	ds_read_b64 v[28:29], v26
	v_ashrrev_i32_e32 v23, 31, v22
	v_cmp_le_i64_e64 s[6:7], s[28:29], v[22:23]
	v_lshl_add_u64 v[30:31], v[24:25], 3, v[20:21]
	ds_write_b64 v26, v[48:49]
	v_add_u32_e32 v26, s25, v26
	v_mov_b64_e32 v[24:25], v[22:23]
	v_add_u32_e32 v22, s67, v22
	s_or_b64 s[42:43], s[6:7], s[42:43]
	s_waitcnt lgkmcnt(1)
	global_store_dwordx2 v[30:31], v[28:29], off
	s_andn2_b64 exec, exec, s[42:43]
	s_cbranch_execnz .LBB16_51
.LBB16_52:                              ;   in Loop: Header=BB16_19 Depth=2
	s_or_b64 exec, exec, s[8:9]
                                        ; implicit-def: $vgpr32
                                        ; implicit-def: $vgpr20
.LBB16_53:                              ;   in Loop: Header=BB16_19 Depth=2
	s_andn2_saveexec_b64 s[8:9], s[40:41]
	s_cbranch_execz .LBB16_18
; %bb.54:                               ;   in Loop: Header=BB16_19 Depth=2
	s_and_saveexec_b64 s[40:41], s[0:1]
	s_cbranch_execz .LBB16_17
; %bb.55:                               ;   in Loop: Header=BB16_19 Depth=2
	v_mul_lo_u32 v26, v32, s24
	v_ashrrev_i32_e32 v27, 31, v26
	v_ashrrev_i32_e32 v21, 31, v20
	v_lshl_add_u64 v[22:23], v[26:27], 3, v[16:17]
	v_mul_lo_u32 v27, s29, v20
	v_mul_lo_u32 v28, s28, v21
	v_mad_u64_u32 v[24:25], s[6:7], s28, v20, 0
	v_add3_u32 v25, v25, v28, v27
	v_lshl_add_u64 v[24:25], v[24:25], 3, s[30:31]
	v_add_u32_e32 v32, v26, v14
	s_mov_b64 s[42:43], 0
	v_mov_b32_e32 v26, v37
	v_mov_b32_e32 v28, v36
	v_mov_b64_e32 v[30:31], v[4:5]
	s_branch .LBB16_57
.LBB16_56:                              ;   in Loop: Header=BB16_57 Depth=3
	s_or_b64 exec, exec, s[44:45]
	v_ashrrev_i32_e32 v27, 31, v26
	v_cmp_le_i64_e64 s[6:7], s[28:29], v[26:27]
	v_mov_b64_e32 v[30:31], v[26:27]
	v_add_u32_e32 v28, s22, v28
	s_or_b64 s[42:43], s[6:7], s[42:43]
	v_add_u32_e32 v26, s67, v26
	s_andn2_b64 exec, exec, s[42:43]
	s_cbranch_execz .LBB16_17
.LBB16_57:                              ;   Parent Loop BB16_13 Depth=1
                                        ;     Parent Loop BB16_19 Depth=2
                                        ; =>    This Inner Loop Header: Depth=3
	v_ashrrev_i32_e32 v29, 31, v28
	v_lshl_add_u64 v[44:45], v[28:29], 3, v[22:23]
	global_load_dwordx2 v[44:45], v[44:45], off
	s_waitcnt vmcnt(0)
	v_cmp_eq_u64_e64 s[6:7], v[44:45], v[20:21]
	s_and_saveexec_b64 s[44:45], s[6:7]
	s_cbranch_execz .LBB16_56
; %bb.58:                               ;   in Loop: Header=BB16_57 Depth=3
	v_add_u32_e32 v44, v32, v28
	v_ashrrev_i32_e32 v45, 31, v44
	v_lshl_add_u64 v[44:45], v[44:45], 3, s[36:37]
	global_load_dwordx2 v[44:45], v[44:45], off
	v_lshl_add_u64 v[30:31], v[30:31], 3, v[24:25]
	s_waitcnt vmcnt(0)
	global_store_dwordx2 v[30:31], v[44:45], off
	s_branch .LBB16_56
.LBB16_59:
	s_endpgm
.LBB16_60:
                                        ; implicit-def: $sgpr6_sgpr7
	s_andn2_b64 vcc, exec, s[34:35]
	s_cbranch_vccz .LBB16_5
	s_branch .LBB16_6
.LBB16_61:
                                        ; implicit-def: $sgpr36_sgpr37
	s_andn2_b64 vcc, exec, s[34:35]
	s_cbranch_vccz .LBB16_8
	s_branch .LBB16_9
	.section	.rodata,"a",@progbits
	.p2align	6, 0x0
	.amdhsa_kernel _ZN2at6native12_GLOBAL__N_122max_pool_backward_nhwcIddEEvPKT_PKlillliiiiiiiiiiiiiiiPS3_
		.amdhsa_group_segment_fixed_size 0
		.amdhsa_private_segment_fixed_size 0
		.amdhsa_kernarg_size 376
		.amdhsa_user_sgpr_count 2
		.amdhsa_user_sgpr_dispatch_ptr 0
		.amdhsa_user_sgpr_queue_ptr 0
		.amdhsa_user_sgpr_kernarg_segment_ptr 1
		.amdhsa_user_sgpr_dispatch_id 0
		.amdhsa_user_sgpr_kernarg_preload_length 0
		.amdhsa_user_sgpr_kernarg_preload_offset 0
		.amdhsa_user_sgpr_private_segment_size 0
		.amdhsa_uses_dynamic_stack 0
		.amdhsa_enable_private_segment 0
		.amdhsa_system_sgpr_workgroup_id_x 1
		.amdhsa_system_sgpr_workgroup_id_y 1
		.amdhsa_system_sgpr_workgroup_id_z 1
		.amdhsa_system_sgpr_workgroup_info 0
		.amdhsa_system_vgpr_workitem_id 2
		.amdhsa_next_free_vgpr 54
		.amdhsa_next_free_sgpr 71
		.amdhsa_accum_offset 56
		.amdhsa_reserve_vcc 1
		.amdhsa_float_round_mode_32 0
		.amdhsa_float_round_mode_16_64 0
		.amdhsa_float_denorm_mode_32 3
		.amdhsa_float_denorm_mode_16_64 3
		.amdhsa_dx10_clamp 1
		.amdhsa_ieee_mode 1
		.amdhsa_fp16_overflow 0
		.amdhsa_tg_split 0
		.amdhsa_exception_fp_ieee_invalid_op 0
		.amdhsa_exception_fp_denorm_src 0
		.amdhsa_exception_fp_ieee_div_zero 0
		.amdhsa_exception_fp_ieee_overflow 0
		.amdhsa_exception_fp_ieee_underflow 0
		.amdhsa_exception_fp_ieee_inexact 0
		.amdhsa_exception_int_div_zero 0
	.end_amdhsa_kernel
	.section	.text._ZN2at6native12_GLOBAL__N_122max_pool_backward_nhwcIddEEvPKT_PKlillliiiiiiiiiiiiiiiPS3_,"axG",@progbits,_ZN2at6native12_GLOBAL__N_122max_pool_backward_nhwcIddEEvPKT_PKlillliiiiiiiiiiiiiiiPS3_,comdat
.Lfunc_end16:
	.size	_ZN2at6native12_GLOBAL__N_122max_pool_backward_nhwcIddEEvPKT_PKlillliiiiiiiiiiiiiiiPS3_, .Lfunc_end16-_ZN2at6native12_GLOBAL__N_122max_pool_backward_nhwcIddEEvPKT_PKlillliiiiiiiiiiiiiiiPS3_
                                        ; -- End function
	.set _ZN2at6native12_GLOBAL__N_122max_pool_backward_nhwcIddEEvPKT_PKlillliiiiiiiiiiiiiiiPS3_.num_vgpr, 54
	.set _ZN2at6native12_GLOBAL__N_122max_pool_backward_nhwcIddEEvPKT_PKlillliiiiiiiiiiiiiiiPS3_.num_agpr, 0
	.set _ZN2at6native12_GLOBAL__N_122max_pool_backward_nhwcIddEEvPKT_PKlillliiiiiiiiiiiiiiiPS3_.numbered_sgpr, 71
	.set _ZN2at6native12_GLOBAL__N_122max_pool_backward_nhwcIddEEvPKT_PKlillliiiiiiiiiiiiiiiPS3_.num_named_barrier, 0
	.set _ZN2at6native12_GLOBAL__N_122max_pool_backward_nhwcIddEEvPKT_PKlillliiiiiiiiiiiiiiiPS3_.private_seg_size, 0
	.set _ZN2at6native12_GLOBAL__N_122max_pool_backward_nhwcIddEEvPKT_PKlillliiiiiiiiiiiiiiiPS3_.uses_vcc, 1
	.set _ZN2at6native12_GLOBAL__N_122max_pool_backward_nhwcIddEEvPKT_PKlillliiiiiiiiiiiiiiiPS3_.uses_flat_scratch, 0
	.set _ZN2at6native12_GLOBAL__N_122max_pool_backward_nhwcIddEEvPKT_PKlillliiiiiiiiiiiiiiiPS3_.has_dyn_sized_stack, 0
	.set _ZN2at6native12_GLOBAL__N_122max_pool_backward_nhwcIddEEvPKT_PKlillliiiiiiiiiiiiiiiPS3_.has_recursion, 0
	.set _ZN2at6native12_GLOBAL__N_122max_pool_backward_nhwcIddEEvPKT_PKlillliiiiiiiiiiiiiiiPS3_.has_indirect_call, 0
	.section	.AMDGPU.csdata,"",@progbits
; Kernel info:
; codeLenInByte = 4256
; TotalNumSgprs: 77
; NumVgprs: 54
; NumAgprs: 0
; TotalNumVgprs: 54
; ScratchSize: 0
; MemoryBound: 0
; FloatMode: 240
; IeeeMode: 1
; LDSByteSize: 0 bytes/workgroup (compile time only)
; SGPRBlocks: 9
; VGPRBlocks: 6
; NumSGPRsForWavesPerEU: 77
; NumVGPRsForWavesPerEU: 54
; AccumOffset: 56
; Occupancy: 8
; WaveLimiterHint : 0
; COMPUTE_PGM_RSRC2:SCRATCH_EN: 0
; COMPUTE_PGM_RSRC2:USER_SGPR: 2
; COMPUTE_PGM_RSRC2:TRAP_HANDLER: 0
; COMPUTE_PGM_RSRC2:TGID_X_EN: 1
; COMPUTE_PGM_RSRC2:TGID_Y_EN: 1
; COMPUTE_PGM_RSRC2:TGID_Z_EN: 1
; COMPUTE_PGM_RSRC2:TIDIG_COMP_CNT: 2
; COMPUTE_PGM_RSRC3_GFX90A:ACCUM_OFFSET: 13
; COMPUTE_PGM_RSRC3_GFX90A:TG_SPLIT: 0
	.section	.text._ZN2at6native12_GLOBAL__N_122max_pool_backward_nchwIddiEEvPKT_PKlT1_S8_S8_S8_S8_S8_iiiiiiiiPS3_,"axG",@progbits,_ZN2at6native12_GLOBAL__N_122max_pool_backward_nchwIddiEEvPKT_PKlT1_S8_S8_S8_S8_S8_iiiiiiiiPS3_,comdat
	.globl	_ZN2at6native12_GLOBAL__N_122max_pool_backward_nchwIddiEEvPKT_PKlT1_S8_S8_S8_S8_S8_iiiiiiiiPS3_ ; -- Begin function _ZN2at6native12_GLOBAL__N_122max_pool_backward_nchwIddiEEvPKT_PKlT1_S8_S8_S8_S8_S8_iiiiiiiiPS3_
	.p2align	8
	.type	_ZN2at6native12_GLOBAL__N_122max_pool_backward_nchwIddiEEvPKT_PKlT1_S8_S8_S8_S8_S8_iiiiiiiiPS3_,@function
_ZN2at6native12_GLOBAL__N_122max_pool_backward_nchwIddiEEvPKT_PKlT1_S8_S8_S8_S8_S8_iiiiiiiiPS3_: ; @_ZN2at6native12_GLOBAL__N_122max_pool_backward_nchwIddiEEvPKT_PKlT1_S8_S8_S8_S8_S8_iiiiiiiiPS3_
; %bb.0:
	s_load_dword s5, s[0:1], 0x5c
	s_load_dwordx8 s[12:19], s[0:1], 0x10
	s_add_u32 s10, s0, 0x50
	s_addc_u32 s11, s1, 0
	v_mov_b32_e32 v1, 0
	s_waitcnt lgkmcnt(0)
	s_and_b32 s6, s5, 0xffff
	v_mov_b32_e32 v2, s2
	s_mul_i32 s28, s15, s14
	v_mad_u64_u32 v[0:1], s[8:9], s6, v2, v[0:1]
	s_ashr_i32 s29, s28, 31
	v_cmp_gt_i64_e32 vcc, s[28:29], v[0:1]
	s_and_saveexec_b64 s[8:9], vcc
	s_cbranch_execz .LBB17_23
; %bb.1:
	s_load_dwordx8 s[20:27], s[0:1], 0x30
	s_load_dword s7, s[10:11], 0x0
	s_add_i32 s2, s18, -1
	s_add_i32 s5, s19, -1
	s_mul_i32 s53, s17, s16
	s_waitcnt lgkmcnt(0)
	s_mul_i32 s2, s24, s2
	s_mul_i32 s5, s25, s5
	s_not_b32 s14, s2
	s_not_b32 s33, s5
	s_cmp_lt_i32 s3, s12
	s_cselect_b64 s[8:9], -1, 0
	s_cmp_lt_i32 s4, s13
	s_cselect_b64 s[18:19], -1, 0
	s_abs_i32 s46, s15
	v_cvt_f32_u32_e32 v2, s46
	s_abs_i32 s48, s20
	v_cvt_f32_u32_e32 v3, s48
	s_load_dwordx4 s[24:27], s[0:1], 0x0
	s_load_dwordx2 s[30:31], s[0:1], 0x48
	v_rcp_iflag_f32_e32 v2, v2
	s_sub_i32 s0, 0, s46
	s_abs_i32 s49, s21
	v_rcp_iflag_f32_e32 v5, v3
	v_mul_f32_e32 v2, 0x4f7ffffe, v2
	v_cvt_u32_f32_e32 v2, v2
	s_mul_i32 s34, s7, s6
	s_mov_b32 s35, 0
	s_ashr_i32 s47, s15, 31
	v_mul_lo_u32 v4, s0, v2
	v_mul_hi_u32 v4, v2, v4
	v_add_u32_e32 v3, v2, v4
	v_cvt_f32_u32_e32 v2, s49
	v_mul_f32_e32 v4, 0x4f7ffffe, v5
	v_cvt_u32_f32_e32 v4, v4
	s_sub_i32 s0, 0, s48
	v_rcp_iflag_f32_e32 v2, v2
	s_ashr_i32 s50, s20, 31
	v_mul_lo_u32 v5, s0, v4
	v_mul_hi_u32 v5, v4, v5
	v_mul_f32_e32 v2, 0x4f7ffffe, v2
	v_cvt_u32_f32_e32 v2, v2
	s_sub_i32 s0, 0, s49
	v_add_u32_e32 v10, v4, v5
	s_ashr_i32 s51, s21, 31
	v_mul_lo_u32 v4, s0, v2
	v_mul_hi_u32 v4, v2, v4
	s_mul_i32 s0, s3, s13
	v_add_u32_e32 v11, v2, v4
	s_add_i32 s0, s4, s0
	v_cndmask_b32_e64 v2, 0, 1, s[8:9]
	s_mul_i32 s52, s16, s0
	s_mul_i32 s54, s53, s13
	s_mov_b64 s[20:21], 0
	v_cmp_ne_u32_e64 s[0:1], 1, v2
	s_branch .LBB17_3
.LBB17_2:                               ;   in Loop: Header=BB17_3 Depth=1
	v_lshl_add_u64 v[0:1], v[0:1], 0, s[34:35]
	v_cmp_le_i64_e32 vcc, s[28:29], v[0:1]
	s_or_b64 s[20:21], vcc, s[20:21]
	s_andn2_b64 exec, exec, s[20:21]
	s_cbranch_execz .LBB17_23
.LBB17_3:                               ; =>This Loop Header: Depth=1
                                        ;     Child Loop BB17_10 Depth 2
                                        ;       Child Loop BB17_14 Depth 3
                                        ;         Child Loop BB17_18 Depth 4
                                        ;           Child Loop BB17_21 Depth 5
	v_sub_u32_e32 v5, 0, v0
	v_max_i32_e32 v5, v0, v5
	v_mul_hi_u32 v6, v5, v3
	v_mul_lo_u32 v7, v6, s46
	v_sub_u32_e32 v5, v5, v7
	v_add_u32_e32 v7, 1, v6
	v_cmp_le_u32_e32 vcc, s46, v5
	v_ashrrev_i32_e32 v2, 31, v0
	v_xor_b32_e32 v4, s47, v2
	v_cndmask_b32_e32 v6, v6, v7, vcc
	v_subrev_u32_e32 v7, s46, v5
	v_cndmask_b32_e32 v5, v5, v7, vcc
	v_add_u32_e32 v7, 1, v6
	v_cmp_le_u32_e32 vcc, s46, v5
	v_mov_b32_e32 v2, 0
	v_mov_b32_e32 v12, 0
	v_cndmask_b32_e32 v5, v6, v7, vcc
	v_xor_b32_e32 v5, v5, v4
	v_sub_u32_e32 v5, v5, v4
	v_add_u32_e32 v4, s22, v5
	v_cmp_lt_i32_e32 vcc, s2, v4
	s_and_saveexec_b64 s[6:7], vcc
	s_cbranch_execz .LBB17_5
; %bb.4:                                ;   in Loop: Header=BB17_3 Depth=1
	v_add_u32_e32 v6, s14, v4
	v_sub_u32_e32 v8, 0, v6
	v_ashrrev_i32_e32 v7, 31, v6
	v_max_i32_e32 v6, v6, v8
	v_mul_hi_u32 v8, v6, v10
	v_mul_lo_u32 v9, v8, s48
	v_sub_u32_e32 v6, v6, v9
	v_add_u32_e32 v9, 1, v8
	v_cmp_le_u32_e32 vcc, s48, v6
	v_xor_b32_e32 v7, s50, v7
	s_nop 0
	v_cndmask_b32_e32 v8, v8, v9, vcc
	v_subrev_u32_e32 v9, s48, v6
	v_cndmask_b32_e32 v6, v6, v9, vcc
	v_add_u32_e32 v9, 1, v8
	v_cmp_le_u32_e32 vcc, s48, v6
	s_nop 1
	v_cndmask_b32_e32 v6, v8, v9, vcc
	v_xor_b32_e32 v6, v6, v7
	v_sub_u32_e32 v6, v6, v7
	v_add_u32_e32 v12, 1, v6
.LBB17_5:                               ;   in Loop: Header=BB17_3 Depth=1
	s_or_b64 exec, exec, s[6:7]
	v_mul_lo_u32 v5, v5, s15
	v_sub_u32_e32 v5, v0, v5
	v_add_u32_e32 v5, s23, v5
	v_cmp_lt_i32_e32 vcc, s5, v5
	s_and_saveexec_b64 s[6:7], vcc
	s_cbranch_execz .LBB17_7
; %bb.6:                                ;   in Loop: Header=BB17_3 Depth=1
	v_add_u32_e32 v2, s33, v5
	v_sub_u32_e32 v7, 0, v2
	v_ashrrev_i32_e32 v6, 31, v2
	v_max_i32_e32 v2, v2, v7
	v_mul_hi_u32 v7, v2, v11
	v_mul_lo_u32 v8, v7, s49
	v_sub_u32_e32 v2, v2, v8
	v_add_u32_e32 v8, 1, v7
	v_cmp_le_u32_e32 vcc, s49, v2
	v_xor_b32_e32 v6, s51, v6
	s_nop 0
	v_cndmask_b32_e32 v7, v7, v8, vcc
	v_subrev_u32_e32 v8, s49, v2
	v_cndmask_b32_e32 v2, v2, v8, vcc
	v_add_u32_e32 v8, 1, v7
	v_cmp_le_u32_e32 vcc, s49, v2
	s_nop 1
	v_cndmask_b32_e32 v2, v7, v8, vcc
	v_xor_b32_e32 v2, v2, v6
	v_sub_u32_e32 v2, v2, v6
	v_add_u32_e32 v2, 1, v2
.LBB17_7:                               ;   in Loop: Header=BB17_3 Depth=1
	s_or_b64 exec, exec, s[6:7]
	s_and_b64 vcc, exec, s[0:1]
	s_cbranch_vccnz .LBB17_2
; %bb.8:                                ;   in Loop: Header=BB17_3 Depth=1
	v_sub_u32_e32 v7, 0, v5
	v_ashrrev_i32_e32 v6, 31, v5
	v_max_i32_e32 v5, v5, v7
	v_mul_hi_u32 v7, v5, v11
	v_mul_lo_u32 v8, v7, s49
	v_sub_u32_e32 v5, v5, v8
	v_add_u32_e32 v8, 1, v7
	v_cmp_le_u32_e32 vcc, s49, v5
	v_xor_b32_e32 v6, s51, v6
	s_load_dword s55, s[10:11], 0x4
	v_cndmask_b32_e32 v7, v7, v8, vcc
	v_subrev_u32_e32 v8, s49, v5
	v_cndmask_b32_e32 v5, v5, v8, vcc
	v_add_u32_e32 v8, 1, v7
	v_cmp_le_u32_e32 vcc, s49, v5
	s_waitcnt lgkmcnt(0)
	s_mul_i32 s56, s54, s55
	s_mov_b32 s57, s3
	v_cndmask_b32_e32 v5, v7, v8, vcc
	v_xor_b32_e32 v5, v5, v6
	v_sub_u32_e32 v5, v5, v6
	v_add_u32_e32 v5, 1, v5
	v_sub_u32_e32 v6, 0, v4
	v_min_i32_e32 v13, s17, v5
	v_ashrrev_i32_e32 v5, 31, v4
	v_max_i32_e32 v4, v4, v6
	v_mul_hi_u32 v6, v4, v10
	v_mul_lo_u32 v7, v6, s48
	v_sub_u32_e32 v4, v4, v7
	v_add_u32_e32 v7, 1, v6
	v_cmp_le_u32_e32 vcc, s48, v4
	v_xor_b32_e32 v5, s50, v5
	v_cmp_lt_i32_e64 s[6:7], v2, v13
	v_cndmask_b32_e32 v6, v6, v7, vcc
	v_subrev_u32_e32 v7, s48, v4
	v_cndmask_b32_e32 v4, v4, v7, vcc
	v_add_u32_e32 v7, 1, v6
	v_cmp_le_u32_e32 vcc, s48, v4
	s_nop 1
	v_cndmask_b32_e32 v4, v6, v7, vcc
	v_xor_b32_e32 v4, v4, v5
	v_sub_u32_e32 v4, v4, v5
	v_add_u32_e32 v4, 1, v4
	v_min_i32_e32 v14, s16, v4
	v_add_u32_e32 v4, s52, v12
	v_cmp_lt_i32_e64 s[8:9], v12, v14
	v_mad_u64_u32 v[4:5], s[36:37], s17, v4, v[2:3]
	s_branch .LBB17_10
.LBB17_9:                               ;   in Loop: Header=BB17_10 Depth=2
	s_add_i32 s57, s55, s57
	s_cmp_ge_i32 s57, s12
	v_add_u32_e32 v4, s56, v4
	s_cbranch_scc1 .LBB17_2
.LBB17_10:                              ;   Parent Loop BB17_3 Depth=1
                                        ; =>  This Loop Header: Depth=2
                                        ;       Child Loop BB17_14 Depth 3
                                        ;         Child Loop BB17_18 Depth 4
                                        ;           Child Loop BB17_21 Depth 5
	s_andn2_b64 vcc, exec, s[18:19]
	s_cbranch_vccnz .LBB17_9
; %bb.11:                               ;   in Loop: Header=BB17_10 Depth=2
	s_load_dword s58, s[10:11], 0x8
	s_mul_i32 s59, s57, s13
	v_mov_b32_e32 v5, v4
	s_mov_b32 s61, s4
	s_waitcnt lgkmcnt(0)
	s_mul_i32 s60, s53, s58
	s_branch .LBB17_14
.LBB17_12:                              ;   in Loop: Header=BB17_14 Depth=3
	s_or_b64 exec, exec, s[38:39]
.LBB17_13:                              ;   in Loop: Header=BB17_14 Depth=3
	s_or_b64 exec, exec, s[36:37]
	s_add_i32 s36, s61, s59
	s_mul_i32 s36, s28, s36
	v_add_u32_e32 v8, s36, v0
	v_ashrrev_i32_e32 v9, 31, v8
	s_add_i32 s61, s58, s61
	v_lshl_add_u64 v[8:9], v[8:9], 3, s[30:31]
	s_cmp_ge_i32 s61, s13
	v_add_u32_e32 v5, s60, v5
	global_store_dwordx2 v[8:9], v[6:7], off
	s_cbranch_scc1 .LBB17_9
.LBB17_14:                              ;   Parent Loop BB17_3 Depth=1
                                        ;     Parent Loop BB17_10 Depth=2
                                        ; =>    This Loop Header: Depth=3
                                        ;         Child Loop BB17_18 Depth 4
                                        ;           Child Loop BB17_21 Depth 5
	v_mov_b64_e32 v[6:7], 0
	s_and_saveexec_b64 s[36:37], s[8:9]
	s_cbranch_execz .LBB17_13
; %bb.15:                               ;   in Loop: Header=BB17_14 Depth=3
	v_mov_b64_e32 v[6:7], 0
	s_mov_b64 s[38:39], 0
	v_mov_b32_e32 v15, v5
	v_mov_b32_e32 v16, v12
	s_branch .LBB17_18
.LBB17_16:                              ;   in Loop: Header=BB17_18 Depth=4
	s_or_b64 exec, exec, s[42:43]
.LBB17_17:                              ;   in Loop: Header=BB17_18 Depth=4
	s_or_b64 exec, exec, s[40:41]
	v_add_u32_e32 v16, 1, v16
	v_cmp_ge_i32_e32 vcc, v16, v14
	s_or_b64 s[38:39], vcc, s[38:39]
	v_add_u32_e32 v15, s17, v15
	s_andn2_b64 exec, exec, s[38:39]
	s_cbranch_execz .LBB17_12
.LBB17_18:                              ;   Parent Loop BB17_3 Depth=1
                                        ;     Parent Loop BB17_10 Depth=2
                                        ;       Parent Loop BB17_14 Depth=3
                                        ; =>      This Loop Header: Depth=4
                                        ;           Child Loop BB17_21 Depth 5
	s_and_saveexec_b64 s[40:41], s[6:7]
	s_cbranch_execz .LBB17_17
; %bb.19:                               ;   in Loop: Header=BB17_18 Depth=4
	s_mov_b64 s[42:43], 0
	v_mov_b32_e32 v8, v15
	v_mov_b32_e32 v17, v2
	s_branch .LBB17_21
.LBB17_20:                              ;   in Loop: Header=BB17_21 Depth=5
	s_or_b64 exec, exec, s[44:45]
	v_add_u32_e32 v17, 1, v17
	v_cmp_ge_i32_e32 vcc, v17, v13
	s_or_b64 s[42:43], vcc, s[42:43]
	v_add_u32_e32 v8, 1, v8
	s_andn2_b64 exec, exec, s[42:43]
	s_cbranch_execz .LBB17_16
.LBB17_21:                              ;   Parent Loop BB17_3 Depth=1
                                        ;     Parent Loop BB17_10 Depth=2
                                        ;       Parent Loop BB17_14 Depth=3
                                        ;         Parent Loop BB17_18 Depth=4
                                        ; =>        This Inner Loop Header: Depth=5
	v_ashrrev_i32_e32 v9, 31, v8
	v_lshl_add_u64 v[18:19], v[8:9], 3, s[26:27]
	global_load_dwordx2 v[18:19], v[18:19], off
	s_waitcnt vmcnt(0)
	v_cmp_eq_u64_e32 vcc, v[18:19], v[0:1]
	s_and_saveexec_b64 s[44:45], vcc
	s_cbranch_execz .LBB17_20
; %bb.22:                               ;   in Loop: Header=BB17_21 Depth=5
	v_lshl_add_u64 v[18:19], v[8:9], 3, s[24:25]
	global_load_dwordx2 v[18:19], v[18:19], off
	s_waitcnt vmcnt(0)
	v_add_f64 v[6:7], v[6:7], v[18:19]
	s_branch .LBB17_20
.LBB17_23:
	s_endpgm
	.section	.rodata,"a",@progbits
	.p2align	6, 0x0
	.amdhsa_kernel _ZN2at6native12_GLOBAL__N_122max_pool_backward_nchwIddiEEvPKT_PKlT1_S8_S8_S8_S8_S8_iiiiiiiiPS3_
		.amdhsa_group_segment_fixed_size 0
		.amdhsa_private_segment_fixed_size 0
		.amdhsa_kernarg_size 336
		.amdhsa_user_sgpr_count 2
		.amdhsa_user_sgpr_dispatch_ptr 0
		.amdhsa_user_sgpr_queue_ptr 0
		.amdhsa_user_sgpr_kernarg_segment_ptr 1
		.amdhsa_user_sgpr_dispatch_id 0
		.amdhsa_user_sgpr_kernarg_preload_length 0
		.amdhsa_user_sgpr_kernarg_preload_offset 0
		.amdhsa_user_sgpr_private_segment_size 0
		.amdhsa_uses_dynamic_stack 0
		.amdhsa_enable_private_segment 0
		.amdhsa_system_sgpr_workgroup_id_x 1
		.amdhsa_system_sgpr_workgroup_id_y 1
		.amdhsa_system_sgpr_workgroup_id_z 1
		.amdhsa_system_sgpr_workgroup_info 0
		.amdhsa_system_vgpr_workitem_id 0
		.amdhsa_next_free_vgpr 20
		.amdhsa_next_free_sgpr 62
		.amdhsa_accum_offset 20
		.amdhsa_reserve_vcc 1
		.amdhsa_float_round_mode_32 0
		.amdhsa_float_round_mode_16_64 0
		.amdhsa_float_denorm_mode_32 3
		.amdhsa_float_denorm_mode_16_64 3
		.amdhsa_dx10_clamp 1
		.amdhsa_ieee_mode 1
		.amdhsa_fp16_overflow 0
		.amdhsa_tg_split 0
		.amdhsa_exception_fp_ieee_invalid_op 0
		.amdhsa_exception_fp_denorm_src 0
		.amdhsa_exception_fp_ieee_div_zero 0
		.amdhsa_exception_fp_ieee_overflow 0
		.amdhsa_exception_fp_ieee_underflow 0
		.amdhsa_exception_fp_ieee_inexact 0
		.amdhsa_exception_int_div_zero 0
	.end_amdhsa_kernel
	.section	.text._ZN2at6native12_GLOBAL__N_122max_pool_backward_nchwIddiEEvPKT_PKlT1_S8_S8_S8_S8_S8_iiiiiiiiPS3_,"axG",@progbits,_ZN2at6native12_GLOBAL__N_122max_pool_backward_nchwIddiEEvPKT_PKlT1_S8_S8_S8_S8_S8_iiiiiiiiPS3_,comdat
.Lfunc_end17:
	.size	_ZN2at6native12_GLOBAL__N_122max_pool_backward_nchwIddiEEvPKT_PKlT1_S8_S8_S8_S8_S8_iiiiiiiiPS3_, .Lfunc_end17-_ZN2at6native12_GLOBAL__N_122max_pool_backward_nchwIddiEEvPKT_PKlT1_S8_S8_S8_S8_S8_iiiiiiiiPS3_
                                        ; -- End function
	.set _ZN2at6native12_GLOBAL__N_122max_pool_backward_nchwIddiEEvPKT_PKlT1_S8_S8_S8_S8_S8_iiiiiiiiPS3_.num_vgpr, 20
	.set _ZN2at6native12_GLOBAL__N_122max_pool_backward_nchwIddiEEvPKT_PKlT1_S8_S8_S8_S8_S8_iiiiiiiiPS3_.num_agpr, 0
	.set _ZN2at6native12_GLOBAL__N_122max_pool_backward_nchwIddiEEvPKT_PKlT1_S8_S8_S8_S8_S8_iiiiiiiiPS3_.numbered_sgpr, 62
	.set _ZN2at6native12_GLOBAL__N_122max_pool_backward_nchwIddiEEvPKT_PKlT1_S8_S8_S8_S8_S8_iiiiiiiiPS3_.num_named_barrier, 0
	.set _ZN2at6native12_GLOBAL__N_122max_pool_backward_nchwIddiEEvPKT_PKlT1_S8_S8_S8_S8_S8_iiiiiiiiPS3_.private_seg_size, 0
	.set _ZN2at6native12_GLOBAL__N_122max_pool_backward_nchwIddiEEvPKT_PKlT1_S8_S8_S8_S8_S8_iiiiiiiiPS3_.uses_vcc, 1
	.set _ZN2at6native12_GLOBAL__N_122max_pool_backward_nchwIddiEEvPKT_PKlT1_S8_S8_S8_S8_S8_iiiiiiiiPS3_.uses_flat_scratch, 0
	.set _ZN2at6native12_GLOBAL__N_122max_pool_backward_nchwIddiEEvPKT_PKlT1_S8_S8_S8_S8_S8_iiiiiiiiPS3_.has_dyn_sized_stack, 0
	.set _ZN2at6native12_GLOBAL__N_122max_pool_backward_nchwIddiEEvPKT_PKlT1_S8_S8_S8_S8_S8_iiiiiiiiPS3_.has_recursion, 0
	.set _ZN2at6native12_GLOBAL__N_122max_pool_backward_nchwIddiEEvPKT_PKlT1_S8_S8_S8_S8_S8_iiiiiiiiPS3_.has_indirect_call, 0
	.section	.AMDGPU.csdata,"",@progbits
; Kernel info:
; codeLenInByte = 1236
; TotalNumSgprs: 68
; NumVgprs: 20
; NumAgprs: 0
; TotalNumVgprs: 20
; ScratchSize: 0
; MemoryBound: 0
; FloatMode: 240
; IeeeMode: 1
; LDSByteSize: 0 bytes/workgroup (compile time only)
; SGPRBlocks: 8
; VGPRBlocks: 2
; NumSGPRsForWavesPerEU: 68
; NumVGPRsForWavesPerEU: 20
; AccumOffset: 20
; Occupancy: 8
; WaveLimiterHint : 0
; COMPUTE_PGM_RSRC2:SCRATCH_EN: 0
; COMPUTE_PGM_RSRC2:USER_SGPR: 2
; COMPUTE_PGM_RSRC2:TRAP_HANDLER: 0
; COMPUTE_PGM_RSRC2:TGID_X_EN: 1
; COMPUTE_PGM_RSRC2:TGID_Y_EN: 1
; COMPUTE_PGM_RSRC2:TGID_Z_EN: 1
; COMPUTE_PGM_RSRC2:TIDIG_COMP_CNT: 0
; COMPUTE_PGM_RSRC3_GFX90A:ACCUM_OFFSET: 4
; COMPUTE_PGM_RSRC3_GFX90A:TG_SPLIT: 0
	.section	.text._ZN2at6native12_GLOBAL__N_122max_pool_backward_nchwIddlEEvPKT_PKlT1_S8_S8_S8_S8_S8_iiiiiiiiPS3_,"axG",@progbits,_ZN2at6native12_GLOBAL__N_122max_pool_backward_nchwIddlEEvPKT_PKlT1_S8_S8_S8_S8_S8_iiiiiiiiPS3_,comdat
	.globl	_ZN2at6native12_GLOBAL__N_122max_pool_backward_nchwIddlEEvPKT_PKlT1_S8_S8_S8_S8_S8_iiiiiiiiPS3_ ; -- Begin function _ZN2at6native12_GLOBAL__N_122max_pool_backward_nchwIddlEEvPKT_PKlT1_S8_S8_S8_S8_S8_iiiiiiiiPS3_
	.p2align	8
	.type	_ZN2at6native12_GLOBAL__N_122max_pool_backward_nchwIddlEEvPKT_PKlT1_S8_S8_S8_S8_S8_iiiiiiiiPS3_,@function
_ZN2at6native12_GLOBAL__N_122max_pool_backward_nchwIddlEEvPKT_PKlT1_S8_S8_S8_S8_S8_iiiiiiiiPS3_: ; @_ZN2at6native12_GLOBAL__N_122max_pool_backward_nchwIddlEEvPKT_PKlT1_S8_S8_S8_S8_S8_iiiiiiiiPS3_
; %bb.0:
	s_mov_b32 s10, s3
	s_load_dword s3, s[0:1], 0x74
	s_load_dwordx16 s[12:27], s[0:1], 0x0
	s_add_u32 s28, s0, 0x68
	v_mov_b32_e32 v2, 0
	s_addc_u32 s29, s1, 0
	s_waitcnt lgkmcnt(0)
	s_and_b32 s6, s3, 0xffff
	v_mov_b32_e32 v1, v2
	v_mov_b32_e32 v3, s2
	v_mad_u64_u32 v[0:1], s[2:3], s6, v3, v[0:1]
	s_mul_i32 s2, s22, s21
	s_mul_hi_u32 s3, s22, s20
	s_add_i32 s2, s3, s2
	s_mul_i32 s3, s23, s20
	s_add_i32 s21, s2, s3
	s_mul_i32 s20, s22, s20
	v_cmp_gt_i64_e32 vcc, s[20:21], v[0:1]
	s_and_saveexec_b64 s[2:3], vcc
	s_cbranch_execz .LBB18_43
; %bb.1:
	s_load_dwordx8 s[40:47], s[0:1], 0x40
	s_load_dwordx2 s[30:31], s[0:1], 0x60
	s_load_dword s7, s[28:29], 0x0
	v_cvt_f32_u32_e32 v3, s22
	s_mov_b32 s11, 0
	s_waitcnt lgkmcnt(0)
	s_add_i32 s0, s40, -1
	s_mul_i32 s0, s46, s0
	s_add_i32 s36, s0, 1
	s_add_i32 s0, s41, -1
	s_mul_i32 s0, s47, s0
	s_ashr_i32 s33, s42, 31
	s_mov_b32 s72, s42
	s_add_i32 s38, s0, 1
	s_mul_i32 s42, s7, s6
	s_mul_i32 s6, s19, s10
	s_mul_hi_u32 s7, s18, s10
	s_ashr_i32 s35, s44, 31
	s_ashr_i32 s37, s36, 31
	;; [unrolled: 1-line block ×5, first 2 shown]
	s_add_i32 s7, s7, s6
	s_mul_i32 s6, s18, s10
	s_add_u32 s6, s6, s4
	s_addc_u32 s7, s7, 0
	s_mul_i32 s7, s24, s7
	s_mul_hi_u32 s8, s24, s6
	v_rcp_iflag_f32_e32 v3, v3
	s_add_i32 s7, s8, s7
	s_mul_i32 s8, s25, s6
	s_mov_b32 s34, s44
	s_mov_b32 s40, s45
	s_add_i32 s45, s7, s8
	s_mul_i32 s44, s24, s6
	s_mul_i32 s6, s26, s25
	s_mul_hi_u32 s7, s26, s24
	s_add_i32 s6, s7, s6
	s_mul_i32 s7, s27, s24
	s_add_i32 s7, s6, s7
	s_mul_i32 s6, s26, s24
	v_mul_f32_e32 v3, 0x4f7ffffe, v3
	s_mul_i32 s8, s6, s19
	s_mul_hi_u32 s9, s6, s18
	v_cvt_u32_f32_e32 v36, v3
	v_mov_b64_e32 v[4:5], s[10:11]
	s_mov_b32 s5, s11
	s_add_i32 s8, s9, s8
	s_mul_i32 s9, s7, s18
	v_cmp_gt_i64_e64 s[0:1], s[16:17], v[4:5]
	v_mov_b64_e32 v[4:5], s[4:5]
	s_add_i32 s9, s8, s9
	s_mul_i32 s8, s6, s18
	s_mov_b32 s74, s43
	v_cmp_gt_i64_e64 s[2:3], s[18:19], v[4:5]
	s_mov_b32 s43, s11
	s_lshl_b64 s[46:47], s[8:9], 3
	s_lshl_b64 s[48:49], s[6:7], 3
	;; [unrolled: 1-line block ×3, first 2 shown]
	s_mov_b64 s[52:53], 0
	s_branch .LBB18_3
.LBB18_2:                               ;   in Loop: Header=BB18_3 Depth=1
	v_lshl_add_u64 v[0:1], v[0:1], 0, s[42:43]
	v_cmp_le_i64_e32 vcc, s[20:21], v[0:1]
	s_or_b64 s[52:53], vcc, s[52:53]
	s_andn2_b64 exec, exec, s[52:53]
	s_cbranch_execz .LBB18_43
.LBB18_3:                               ; =>This Loop Header: Depth=1
                                        ;     Child Loop BB18_30 Depth 2
                                        ;       Child Loop BB18_34 Depth 3
                                        ;         Child Loop BB18_38 Depth 4
                                        ;           Child Loop BB18_41 Depth 5
	v_or_b32_e32 v3, s23, v1
	v_cmp_ne_u64_e32 vcc, 0, v[2:3]
                                        ; implicit-def: $vgpr8_vgpr9
	s_and_saveexec_b64 s[6:7], vcc
	s_xor_b64 s[8:9], exec, s[6:7]
	s_cbranch_execz .LBB18_5
; %bb.4:                                ;   in Loop: Header=BB18_3 Depth=1
	s_ashr_i32 s54, s23, 31
	s_add_u32 s6, s22, s54
	s_mov_b32 s55, s54
	s_addc_u32 s7, s23, s54
	s_xor_b64 s[56:57], s[6:7], s[54:55]
	v_cvt_f32_u32_e32 v3, s56
	v_cvt_f32_u32_e32 v4, s57
	s_sub_u32 s55, 0, s56
	s_subb_u32 s58, 0, s57
	v_mov_b32_e32 v9, v2
	v_fmac_f32_e32 v3, 0x4f800000, v4
	v_rcp_f32_e32 v3, v3
	s_nop 0
	v_mul_f32_e32 v3, 0x5f7ffffc, v3
	v_mul_f32_e32 v4, 0x2f800000, v3
	v_trunc_f32_e32 v4, v4
	v_fmac_f32_e32 v3, 0xcf800000, v4
	v_cvt_u32_f32_e32 v4, v4
	v_cvt_u32_f32_e32 v3, v3
	v_readfirstlane_b32 s59, v4
	v_readfirstlane_b32 s6, v3
	s_mul_i32 s7, s55, s59
	s_mul_hi_u32 s61, s55, s6
	s_mul_i32 s60, s58, s6
	s_add_i32 s7, s61, s7
	s_add_i32 s7, s7, s60
	s_mul_i32 s62, s55, s6
	s_mul_i32 s61, s6, s7
	s_mul_hi_u32 s63, s6, s62
	s_mul_hi_u32 s60, s6, s7
	s_add_u32 s61, s63, s61
	s_addc_u32 s60, 0, s60
	s_mul_hi_u32 s64, s59, s62
	s_mul_i32 s62, s59, s62
	s_add_u32 s61, s61, s62
	s_mul_hi_u32 s63, s59, s7
	s_addc_u32 s60, s60, s64
	s_addc_u32 s61, s63, 0
	s_mul_i32 s7, s59, s7
	s_add_u32 s7, s60, s7
	s_addc_u32 s60, 0, s61
	s_add_u32 s61, s6, s7
	s_cselect_b64 s[6:7], -1, 0
	s_cmp_lg_u64 s[6:7], 0
	s_addc_u32 s59, s59, s60
	s_mul_i32 s6, s55, s59
	s_mul_hi_u32 s7, s55, s61
	s_add_i32 s6, s7, s6
	s_mul_i32 s58, s58, s61
	s_add_i32 s6, s6, s58
	s_mul_i32 s55, s55, s61
	s_mul_hi_u32 s58, s59, s55
	s_mul_i32 s60, s59, s55
	s_mul_i32 s63, s61, s6
	s_mul_hi_u32 s55, s61, s55
	s_mul_hi_u32 s62, s61, s6
	s_add_u32 s55, s55, s63
	s_addc_u32 s62, 0, s62
	s_add_u32 s55, s55, s60
	s_mul_hi_u32 s7, s59, s6
	s_addc_u32 s55, s62, s58
	s_addc_u32 s7, s7, 0
	s_mul_i32 s6, s59, s6
	s_add_u32 s6, s55, s6
	s_addc_u32 s55, 0, s7
	s_add_u32 s58, s61, s6
	v_ashrrev_i32_e32 v4, 31, v1
	s_cselect_b64 s[6:7], -1, 0
	v_mov_b32_e32 v5, v4
	s_cmp_lg_u64 s[6:7], 0
	v_lshl_add_u64 v[6:7], v[0:1], 0, v[4:5]
	s_addc_u32 s55, s59, s55
	v_xor_b32_e32 v5, v6, v4
	v_xor_b32_e32 v3, v7, v4
	v_mad_u64_u32 v[6:7], s[6:7], v5, s55, 0
	v_mul_hi_u32 v8, v5, s58
	v_lshl_add_u64 v[6:7], v[8:9], 0, v[6:7]
	v_mad_u64_u32 v[10:11], s[6:7], v3, s58, 0
	v_add_co_u32_e32 v6, vcc, v6, v10
	v_mad_u64_u32 v[8:9], s[6:7], v3, s55, 0
	s_nop 0
	v_addc_co_u32_e32 v6, vcc, v7, v11, vcc
	v_mov_b32_e32 v7, v2
	s_nop 0
	v_addc_co_u32_e32 v9, vcc, 0, v9, vcc
	v_lshl_add_u64 v[6:7], v[6:7], 0, v[8:9]
	v_mul_lo_u32 v10, s57, v6
	v_mul_lo_u32 v11, s56, v7
	v_mad_u64_u32 v[8:9], s[6:7], s56, v6, 0
	v_add3_u32 v12, v9, v11, v10
	v_sub_u32_e32 v9, v3, v12
	v_mov_b32_e32 v10, s57
	v_sub_co_u32_e32 v5, vcc, v5, v8
	v_xor_b32_e32 v4, s54, v4
	s_nop 0
	v_subb_co_u32_e64 v8, s[6:7], v9, v10, vcc
	v_subrev_co_u32_e64 v9, s[6:7], s56, v5
	v_subb_co_u32_e32 v3, vcc, v3, v12, vcc
	s_nop 0
	v_subbrev_co_u32_e64 v8, s[6:7], 0, v8, s[6:7]
	v_cmp_le_u32_e64 s[6:7], s57, v8
	v_cmp_le_u32_e32 vcc, s57, v3
	s_nop 0
	v_cndmask_b32_e64 v10, 0, -1, s[6:7]
	v_cmp_le_u32_e64 s[6:7], s56, v9
	s_nop 1
	v_cndmask_b32_e64 v9, 0, -1, s[6:7]
	v_cmp_eq_u32_e64 s[6:7], s57, v8
	s_nop 1
	v_cndmask_b32_e64 v13, v10, v9, s[6:7]
	v_lshl_add_u64 v[8:9], v[6:7], 0, 2
	v_lshl_add_u64 v[10:11], v[6:7], 0, 1
	v_cmp_ne_u32_e64 s[6:7], 0, v13
	s_nop 1
	v_cndmask_b32_e64 v9, v11, v9, s[6:7]
	v_cndmask_b32_e64 v11, 0, -1, vcc
	v_cmp_le_u32_e32 vcc, s56, v5
	s_nop 1
	v_cndmask_b32_e64 v5, 0, -1, vcc
	v_cmp_eq_u32_e32 vcc, s57, v3
	s_nop 1
	v_cndmask_b32_e32 v3, v11, v5, vcc
	v_cmp_ne_u32_e32 vcc, 0, v3
	v_cndmask_b32_e64 v5, v10, v8, s[6:7]
	s_nop 0
	v_cndmask_b32_e32 v5, v6, v5, vcc
	v_cndmask_b32_e32 v3, v7, v9, vcc
	v_xor_b32_e32 v5, v5, v4
	v_xor_b32_e32 v3, v3, v4
	v_sub_co_u32_e32 v8, vcc, v5, v4
	s_nop 1
	v_subb_co_u32_e32 v9, vcc, v3, v4, vcc
.LBB18_5:                               ;   in Loop: Header=BB18_3 Depth=1
	s_andn2_saveexec_b64 s[6:7], s[8:9]
	s_cbranch_execz .LBB18_7
; %bb.6:                                ;   in Loop: Header=BB18_3 Depth=1
	s_sub_i32 s8, 0, s22
	v_mul_lo_u32 v3, s8, v36
	v_mul_hi_u32 v3, v36, v3
	v_add_u32_e32 v3, v36, v3
	v_mul_hi_u32 v3, v0, v3
	v_mul_lo_u32 v4, v3, s22
	v_sub_u32_e32 v4, v0, v4
	v_subrev_u32_e32 v5, s22, v4
	v_cmp_le_u32_e32 vcc, s22, v4
	v_mov_b32_e32 v9, v2
	s_nop 0
	v_cndmask_b32_e32 v4, v4, v5, vcc
	v_add_u32_e32 v5, 1, v3
	v_cndmask_b32_e32 v3, v3, v5, vcc
	v_add_u32_e32 v5, 1, v3
	v_cmp_le_u32_e32 vcc, s22, v4
	s_nop 1
	v_cndmask_b32_e32 v8, v3, v5, vcc
.LBB18_7:                               ;   in Loop: Header=BB18_3 Depth=1
	s_or_b64 exec, exec, s[6:7]
	v_lshl_add_u64 v[10:11], v[8:9], 0, s[34:35]
	v_cmp_le_i64_e32 vcc, s[36:37], v[10:11]
	v_mov_b64_e32 v[4:5], 0
	s_and_saveexec_b64 s[8:9], vcc
	s_cbranch_execz .LBB18_13
; %bb.8:                                ;   in Loop: Header=BB18_3 Depth=1
	v_mov_b32_e32 v3, s37
	v_subrev_co_u32_e32 v4, vcc, s36, v10
                                        ; implicit-def: $vgpr6_vgpr7
	s_nop 1
	v_subb_co_u32_e32 v5, vcc, v11, v3, vcc
	v_or_b32_e32 v3, s33, v5
	v_cmp_ne_u64_e32 vcc, 0, v[2:3]
	s_and_saveexec_b64 s[6:7], vcc
	s_xor_b64 s[54:55], exec, s[6:7]
	s_cbranch_execz .LBB18_10
; %bb.9:                                ;   in Loop: Header=BB18_3 Depth=1
	s_ashr_i32 s56, s33, 31
	s_add_u32 s6, s72, s56
	s_mov_b32 s57, s56
	s_addc_u32 s7, s33, s56
	s_xor_b64 s[58:59], s[6:7], s[56:57]
	v_cvt_f32_u32_e32 v3, s58
	v_cvt_f32_u32_e32 v6, s59
	s_sub_u32 s57, 0, s58
	s_subb_u32 s60, 0, s59
	v_mov_b32_e32 v13, v2
	v_fmac_f32_e32 v3, 0x4f800000, v6
	v_rcp_f32_e32 v3, v3
	s_nop 0
	v_mul_f32_e32 v3, 0x5f7ffffc, v3
	v_mul_f32_e32 v6, 0x2f800000, v3
	v_trunc_f32_e32 v6, v6
	v_fmac_f32_e32 v3, 0xcf800000, v6
	v_cvt_u32_f32_e32 v6, v6
	v_cvt_u32_f32_e32 v3, v3
	v_readfirstlane_b32 s61, v6
	v_readfirstlane_b32 s6, v3
	s_mul_i32 s7, s57, s61
	s_mul_hi_u32 s63, s57, s6
	s_mul_i32 s62, s60, s6
	s_add_i32 s7, s63, s7
	s_add_i32 s7, s7, s62
	s_mul_i32 s64, s57, s6
	s_mul_i32 s63, s6, s7
	s_mul_hi_u32 s65, s6, s64
	s_mul_hi_u32 s62, s6, s7
	s_add_u32 s63, s65, s63
	s_addc_u32 s62, 0, s62
	s_mul_hi_u32 s66, s61, s64
	s_mul_i32 s64, s61, s64
	s_add_u32 s63, s63, s64
	s_mul_hi_u32 s65, s61, s7
	s_addc_u32 s62, s62, s66
	s_addc_u32 s63, s65, 0
	s_mul_i32 s7, s61, s7
	s_add_u32 s7, s62, s7
	s_addc_u32 s62, 0, s63
	s_add_u32 s63, s6, s7
	s_cselect_b64 s[6:7], -1, 0
	s_cmp_lg_u64 s[6:7], 0
	s_addc_u32 s61, s61, s62
	s_mul_i32 s6, s57, s61
	s_mul_hi_u32 s7, s57, s63
	s_add_i32 s6, s7, s6
	s_mul_i32 s60, s60, s63
	s_add_i32 s6, s6, s60
	s_mul_i32 s57, s57, s63
	s_mul_hi_u32 s60, s61, s57
	s_mul_i32 s62, s61, s57
	s_mul_i32 s65, s63, s6
	s_mul_hi_u32 s57, s63, s57
	s_mul_hi_u32 s64, s63, s6
	s_add_u32 s57, s57, s65
	s_addc_u32 s64, 0, s64
	s_add_u32 s57, s57, s62
	s_mul_hi_u32 s7, s61, s6
	s_addc_u32 s57, s64, s60
	s_addc_u32 s7, s7, 0
	s_mul_i32 s6, s61, s6
	s_add_u32 s6, s57, s6
	s_addc_u32 s57, 0, s7
	s_add_u32 s60, s63, s6
	v_ashrrev_i32_e32 v6, 31, v5
	s_cselect_b64 s[6:7], -1, 0
	v_mov_b32_e32 v7, v6
	s_cmp_lg_u64 s[6:7], 0
	v_lshl_add_u64 v[4:5], v[4:5], 0, v[6:7]
	s_addc_u32 s57, s61, s57
	v_xor_b32_e32 v7, v4, v6
	v_xor_b32_e32 v3, v5, v6
	v_mad_u64_u32 v[4:5], s[6:7], v7, s57, 0
	v_mul_hi_u32 v12, v7, s60
	v_lshl_add_u64 v[4:5], v[12:13], 0, v[4:5]
	v_mad_u64_u32 v[14:15], s[6:7], v3, s60, 0
	v_add_co_u32_e32 v4, vcc, v4, v14
	v_mad_u64_u32 v[12:13], s[6:7], v3, s57, 0
	s_nop 0
	v_addc_co_u32_e32 v4, vcc, v5, v15, vcc
	v_mov_b32_e32 v5, v2
	s_nop 0
	v_addc_co_u32_e32 v13, vcc, 0, v13, vcc
	v_lshl_add_u64 v[4:5], v[4:5], 0, v[12:13]
	v_mul_lo_u32 v14, s59, v4
	v_mul_lo_u32 v15, s58, v5
	v_mad_u64_u32 v[12:13], s[6:7], s58, v4, 0
	v_add3_u32 v16, v13, v15, v14
	v_sub_u32_e32 v13, v3, v16
	v_mov_b32_e32 v14, s59
	v_sub_co_u32_e32 v7, vcc, v7, v12
	s_nop 1
	v_subb_co_u32_e64 v12, s[6:7], v13, v14, vcc
	v_subrev_co_u32_e64 v13, s[6:7], s58, v7
	v_subb_co_u32_e32 v3, vcc, v3, v16, vcc
	s_nop 0
	v_subbrev_co_u32_e64 v12, s[6:7], 0, v12, s[6:7]
	v_cmp_le_u32_e64 s[6:7], s59, v12
	v_cmp_le_u32_e32 vcc, s59, v3
	s_nop 0
	v_cndmask_b32_e64 v14, 0, -1, s[6:7]
	v_cmp_le_u32_e64 s[6:7], s58, v13
	s_nop 1
	v_cndmask_b32_e64 v13, 0, -1, s[6:7]
	v_cmp_eq_u32_e64 s[6:7], s59, v12
	s_nop 1
	v_cndmask_b32_e64 v17, v14, v13, s[6:7]
	v_lshl_add_u64 v[12:13], v[4:5], 0, 2
	v_lshl_add_u64 v[14:15], v[4:5], 0, 1
	v_cmp_ne_u32_e64 s[6:7], 0, v17
	s_nop 1
	v_cndmask_b32_e64 v13, v15, v13, s[6:7]
	v_cndmask_b32_e64 v15, 0, -1, vcc
	v_cmp_le_u32_e32 vcc, s58, v7
	s_nop 1
	v_cndmask_b32_e64 v7, 0, -1, vcc
	v_cmp_eq_u32_e32 vcc, s59, v3
	s_nop 1
	v_cndmask_b32_e32 v3, v15, v7, vcc
	v_cmp_ne_u32_e32 vcc, 0, v3
	s_nop 1
	v_cndmask_b32_e32 v3, v5, v13, vcc
	v_cndmask_b32_e64 v5, v14, v12, s[6:7]
	v_cndmask_b32_e32 v4, v4, v5, vcc
	v_xor_b32_e32 v5, s56, v6
	v_xor_b32_e32 v4, v4, v5
	;; [unrolled: 1-line block ×3, first 2 shown]
	v_sub_co_u32_e32 v6, vcc, v4, v5
                                        ; implicit-def: $vgpr4
	s_nop 1
	v_subb_co_u32_e32 v7, vcc, v3, v5, vcc
.LBB18_10:                              ;   in Loop: Header=BB18_3 Depth=1
	s_andn2_saveexec_b64 s[6:7], s[54:55]
	s_cbranch_execz .LBB18_12
; %bb.11:                               ;   in Loop: Header=BB18_3 Depth=1
	v_cvt_f32_u32_e32 v3, s72
	s_sub_i32 s54, 0, s72
	v_mov_b32_e32 v7, v2
	v_rcp_iflag_f32_e32 v3, v3
	s_nop 0
	v_mul_f32_e32 v3, 0x4f7ffffe, v3
	v_cvt_u32_f32_e32 v3, v3
	v_mul_lo_u32 v5, s54, v3
	v_mul_hi_u32 v5, v3, v5
	v_add_u32_e32 v3, v3, v5
	v_mul_hi_u32 v3, v4, v3
	v_mul_lo_u32 v5, v3, s72
	v_sub_u32_e32 v4, v4, v5
	v_add_u32_e32 v6, 1, v3
	v_subrev_u32_e32 v5, s72, v4
	v_cmp_le_u32_e32 vcc, s72, v4
	s_nop 1
	v_cndmask_b32_e32 v4, v4, v5, vcc
	v_cndmask_b32_e32 v3, v3, v6, vcc
	v_add_u32_e32 v5, 1, v3
	v_cmp_le_u32_e32 vcc, s72, v4
	s_nop 1
	v_cndmask_b32_e32 v6, v3, v5, vcc
.LBB18_12:                              ;   in Loop: Header=BB18_3 Depth=1
	s_or_b64 exec, exec, s[6:7]
	v_lshl_add_u64 v[4:5], v[6:7], 0, 1
.LBB18_13:                              ;   in Loop: Header=BB18_3 Depth=1
	s_or_b64 exec, exec, s[8:9]
	v_or_b32_e32 v3, s33, v11
	v_cmp_ne_u64_e32 vcc, 0, v[2:3]
                                        ; implicit-def: $vgpr6_vgpr7
	s_and_saveexec_b64 s[6:7], vcc
	s_xor_b64 s[8:9], exec, s[6:7]
	s_cbranch_execz .LBB18_15
; %bb.14:                               ;   in Loop: Header=BB18_3 Depth=1
	s_ashr_i32 s54, s33, 31
	s_add_u32 s6, s72, s54
	s_mov_b32 s55, s54
	s_addc_u32 s7, s33, s54
	s_xor_b64 s[56:57], s[6:7], s[54:55]
	v_cvt_f32_u32_e32 v3, s56
	v_cvt_f32_u32_e32 v6, s57
	s_sub_u32 s55, 0, s56
	s_subb_u32 s58, 0, s57
	v_mov_b32_e32 v13, v2
	v_fmac_f32_e32 v3, 0x4f800000, v6
	v_rcp_f32_e32 v3, v3
	s_nop 0
	v_mul_f32_e32 v3, 0x5f7ffffc, v3
	v_mul_f32_e32 v6, 0x2f800000, v3
	v_trunc_f32_e32 v6, v6
	v_fmac_f32_e32 v3, 0xcf800000, v6
	v_cvt_u32_f32_e32 v6, v6
	v_cvt_u32_f32_e32 v3, v3
	v_readfirstlane_b32 s59, v6
	v_readfirstlane_b32 s6, v3
	s_mul_i32 s7, s55, s59
	s_mul_hi_u32 s61, s55, s6
	s_mul_i32 s60, s58, s6
	s_add_i32 s7, s61, s7
	s_add_i32 s7, s7, s60
	s_mul_i32 s62, s55, s6
	s_mul_i32 s61, s6, s7
	s_mul_hi_u32 s63, s6, s62
	s_mul_hi_u32 s60, s6, s7
	s_add_u32 s61, s63, s61
	s_addc_u32 s60, 0, s60
	s_mul_hi_u32 s64, s59, s62
	s_mul_i32 s62, s59, s62
	s_add_u32 s61, s61, s62
	s_mul_hi_u32 s63, s59, s7
	s_addc_u32 s60, s60, s64
	s_addc_u32 s61, s63, 0
	s_mul_i32 s7, s59, s7
	s_add_u32 s7, s60, s7
	s_addc_u32 s60, 0, s61
	s_add_u32 s61, s6, s7
	s_cselect_b64 s[6:7], -1, 0
	s_cmp_lg_u64 s[6:7], 0
	s_addc_u32 s59, s59, s60
	s_mul_i32 s6, s55, s59
	s_mul_hi_u32 s7, s55, s61
	s_add_i32 s6, s7, s6
	s_mul_i32 s58, s58, s61
	s_add_i32 s6, s6, s58
	s_mul_i32 s55, s55, s61
	s_mul_hi_u32 s58, s59, s55
	s_mul_i32 s60, s59, s55
	s_mul_i32 s63, s61, s6
	s_mul_hi_u32 s55, s61, s55
	s_mul_hi_u32 s62, s61, s6
	s_add_u32 s55, s55, s63
	s_addc_u32 s62, 0, s62
	s_add_u32 s55, s55, s60
	s_mul_hi_u32 s7, s59, s6
	s_addc_u32 s55, s62, s58
	s_addc_u32 s7, s7, 0
	s_mul_i32 s6, s59, s6
	s_add_u32 s6, s55, s6
	s_addc_u32 s55, 0, s7
	s_add_u32 s58, s61, s6
	v_ashrrev_i32_e32 v6, 31, v11
	s_cselect_b64 s[6:7], -1, 0
	v_mov_b32_e32 v7, v6
	s_cmp_lg_u64 s[6:7], 0
	v_lshl_add_u64 v[10:11], v[10:11], 0, v[6:7]
	s_addc_u32 s55, s59, s55
	v_xor_b32_e32 v7, v10, v6
	v_xor_b32_e32 v3, v11, v6
	v_mad_u64_u32 v[10:11], s[6:7], v7, s55, 0
	v_mul_hi_u32 v12, v7, s58
	v_lshl_add_u64 v[10:11], v[12:13], 0, v[10:11]
	v_mad_u64_u32 v[14:15], s[6:7], v3, s58, 0
	v_add_co_u32_e32 v10, vcc, v10, v14
	v_mad_u64_u32 v[12:13], s[6:7], v3, s55, 0
	s_nop 0
	v_addc_co_u32_e32 v10, vcc, v11, v15, vcc
	v_mov_b32_e32 v11, v2
	s_nop 0
	v_addc_co_u32_e32 v13, vcc, 0, v13, vcc
	v_lshl_add_u64 v[10:11], v[10:11], 0, v[12:13]
	v_mul_lo_u32 v14, s57, v10
	v_mul_lo_u32 v15, s56, v11
	v_mad_u64_u32 v[12:13], s[6:7], s56, v10, 0
	v_add3_u32 v16, v13, v15, v14
	v_sub_u32_e32 v13, v3, v16
	v_mov_b32_e32 v14, s57
	v_sub_co_u32_e32 v7, vcc, v7, v12
	s_nop 1
	v_subb_co_u32_e64 v12, s[6:7], v13, v14, vcc
	v_subrev_co_u32_e64 v13, s[6:7], s56, v7
	v_subb_co_u32_e32 v3, vcc, v3, v16, vcc
	s_nop 0
	v_subbrev_co_u32_e64 v12, s[6:7], 0, v12, s[6:7]
	v_cmp_le_u32_e64 s[6:7], s57, v12
	v_cmp_le_u32_e32 vcc, s57, v3
	s_nop 0
	v_cndmask_b32_e64 v14, 0, -1, s[6:7]
	v_cmp_le_u32_e64 s[6:7], s56, v13
	s_nop 1
	v_cndmask_b32_e64 v13, 0, -1, s[6:7]
	v_cmp_eq_u32_e64 s[6:7], s57, v12
	s_nop 1
	v_cndmask_b32_e64 v17, v14, v13, s[6:7]
	v_lshl_add_u64 v[12:13], v[10:11], 0, 2
	v_lshl_add_u64 v[14:15], v[10:11], 0, 1
	v_cmp_ne_u32_e64 s[6:7], 0, v17
	s_nop 1
	v_cndmask_b32_e64 v13, v15, v13, s[6:7]
	v_cndmask_b32_e64 v15, 0, -1, vcc
	v_cmp_le_u32_e32 vcc, s56, v7
	s_nop 1
	v_cndmask_b32_e64 v7, 0, -1, vcc
	v_cmp_eq_u32_e32 vcc, s57, v3
	s_nop 1
	v_cndmask_b32_e32 v3, v15, v7, vcc
	v_cmp_ne_u32_e32 vcc, 0, v3
	v_cndmask_b32_e64 v7, v14, v12, s[6:7]
	s_nop 0
	v_cndmask_b32_e32 v7, v10, v7, vcc
	v_xor_b32_e32 v10, s54, v6
	v_cndmask_b32_e32 v3, v11, v13, vcc
	v_xor_b32_e32 v6, v7, v10
	v_xor_b32_e32 v3, v3, v10
	v_sub_co_u32_e32 v6, vcc, v6, v10
	s_nop 1
	v_subb_co_u32_e32 v7, vcc, v3, v10, vcc
                                        ; implicit-def: $vgpr10_vgpr11
.LBB18_15:                              ;   in Loop: Header=BB18_3 Depth=1
	s_andn2_saveexec_b64 s[6:7], s[8:9]
	s_cbranch_execz .LBB18_17
; %bb.16:                               ;   in Loop: Header=BB18_3 Depth=1
	v_cvt_f32_u32_e32 v3, s72
	s_sub_i32 s8, 0, s72
	v_rcp_iflag_f32_e32 v3, v3
	s_nop 0
	v_mul_f32_e32 v3, 0x4f7ffffe, v3
	v_cvt_u32_f32_e32 v3, v3
	v_mul_lo_u32 v6, s8, v3
	v_mul_hi_u32 v6, v3, v6
	v_add_u32_e32 v3, v3, v6
	v_mul_hi_u32 v3, v10, v3
	v_mul_lo_u32 v6, v3, s72
	v_sub_u32_e32 v6, v10, v6
	v_add_u32_e32 v7, 1, v3
	v_subrev_u32_e32 v10, s72, v6
	v_cmp_le_u32_e32 vcc, s72, v6
	s_nop 1
	v_cndmask_b32_e32 v6, v6, v10, vcc
	v_cndmask_b32_e32 v3, v3, v7, vcc
	v_add_u32_e32 v7, 1, v3
	v_cmp_le_u32_e32 vcc, s72, v6
	s_nop 1
	v_cndmask_b32_e32 v6, v3, v7, vcc
	v_mov_b32_e32 v7, v2
.LBB18_17:                              ;   in Loop: Header=BB18_3 Depth=1
	s_or_b64 exec, exec, s[6:7]
	v_mul_lo_u32 v3, v9, s22
	v_mul_lo_u32 v10, v8, s23
	v_mad_u64_u32 v[8:9], s[6:7], v8, s22, 0
	v_add3_u32 v3, v9, v10, v3
	v_sub_co_u32_e32 v8, vcc, v0, v8
	s_nop 1
	v_subb_co_u32_e32 v9, vcc, v1, v3, vcc
	v_lshl_add_u64 v[10:11], v[8:9], 0, s[40:41]
	v_cmp_le_i64_e32 vcc, s[38:39], v[10:11]
	v_mov_b64_e32 v[8:9], 0
	s_and_saveexec_b64 s[8:9], vcc
	s_cbranch_execz .LBB18_23
; %bb.18:                               ;   in Loop: Header=BB18_3 Depth=1
	v_mov_b32_e32 v3, s39
	v_subrev_co_u32_e32 v8, vcc, s38, v10
                                        ; implicit-def: $vgpr12_vgpr13
	s_nop 1
	v_subb_co_u32_e32 v9, vcc, v11, v3, vcc
	v_or_b32_e32 v3, s73, v9
	v_cmp_ne_u64_e32 vcc, 0, v[2:3]
	s_and_saveexec_b64 s[6:7], vcc
	s_xor_b64 s[54:55], exec, s[6:7]
	s_cbranch_execz .LBB18_20
; %bb.19:                               ;   in Loop: Header=BB18_3 Depth=1
	s_ashr_i32 s56, s73, 31
	s_add_u32 s6, s74, s56
	s_mov_b32 s57, s56
	s_addc_u32 s7, s73, s56
	s_xor_b64 s[58:59], s[6:7], s[56:57]
	v_cvt_f32_u32_e32 v3, s58
	v_cvt_f32_u32_e32 v12, s59
	s_sub_u32 s57, 0, s58
	s_subb_u32 s60, 0, s59
	v_mov_b32_e32 v15, v2
	v_fmac_f32_e32 v3, 0x4f800000, v12
	v_rcp_f32_e32 v3, v3
	s_nop 0
	v_mul_f32_e32 v3, 0x5f7ffffc, v3
	v_mul_f32_e32 v12, 0x2f800000, v3
	v_trunc_f32_e32 v12, v12
	v_fmac_f32_e32 v3, 0xcf800000, v12
	v_cvt_u32_f32_e32 v12, v12
	v_cvt_u32_f32_e32 v3, v3
	v_readfirstlane_b32 s61, v12
	v_readfirstlane_b32 s6, v3
	s_mul_i32 s7, s57, s61
	s_mul_hi_u32 s63, s57, s6
	s_mul_i32 s62, s60, s6
	s_add_i32 s7, s63, s7
	s_add_i32 s7, s7, s62
	s_mul_i32 s64, s57, s6
	s_mul_i32 s63, s6, s7
	s_mul_hi_u32 s65, s6, s64
	s_mul_hi_u32 s62, s6, s7
	s_add_u32 s63, s65, s63
	s_addc_u32 s62, 0, s62
	s_mul_hi_u32 s66, s61, s64
	s_mul_i32 s64, s61, s64
	s_add_u32 s63, s63, s64
	s_mul_hi_u32 s65, s61, s7
	s_addc_u32 s62, s62, s66
	s_addc_u32 s63, s65, 0
	s_mul_i32 s7, s61, s7
	s_add_u32 s7, s62, s7
	s_addc_u32 s62, 0, s63
	s_add_u32 s63, s6, s7
	s_cselect_b64 s[6:7], -1, 0
	s_cmp_lg_u64 s[6:7], 0
	s_addc_u32 s61, s61, s62
	s_mul_i32 s6, s57, s61
	s_mul_hi_u32 s7, s57, s63
	s_add_i32 s6, s7, s6
	s_mul_i32 s60, s60, s63
	s_add_i32 s6, s6, s60
	s_mul_i32 s57, s57, s63
	s_mul_hi_u32 s60, s61, s57
	s_mul_i32 s62, s61, s57
	s_mul_i32 s65, s63, s6
	s_mul_hi_u32 s57, s63, s57
	s_mul_hi_u32 s64, s63, s6
	s_add_u32 s57, s57, s65
	s_addc_u32 s64, 0, s64
	s_add_u32 s57, s57, s62
	s_mul_hi_u32 s7, s61, s6
	s_addc_u32 s57, s64, s60
	s_addc_u32 s7, s7, 0
	s_mul_i32 s6, s61, s6
	s_add_u32 s6, s57, s6
	s_addc_u32 s57, 0, s7
	s_add_u32 s60, s63, s6
	v_ashrrev_i32_e32 v12, 31, v9
	s_cselect_b64 s[6:7], -1, 0
	v_mov_b32_e32 v13, v12
	s_cmp_lg_u64 s[6:7], 0
	v_lshl_add_u64 v[8:9], v[8:9], 0, v[12:13]
	s_addc_u32 s57, s61, s57
	v_xor_b32_e32 v13, v8, v12
	v_xor_b32_e32 v3, v9, v12
	v_mad_u64_u32 v[8:9], s[6:7], v13, s57, 0
	v_mul_hi_u32 v14, v13, s60
	v_lshl_add_u64 v[8:9], v[14:15], 0, v[8:9]
	v_mad_u64_u32 v[16:17], s[6:7], v3, s60, 0
	v_add_co_u32_e32 v8, vcc, v8, v16
	v_mad_u64_u32 v[14:15], s[6:7], v3, s57, 0
	s_nop 0
	v_addc_co_u32_e32 v8, vcc, v9, v17, vcc
	v_mov_b32_e32 v9, v2
	s_nop 0
	v_addc_co_u32_e32 v15, vcc, 0, v15, vcc
	v_lshl_add_u64 v[8:9], v[8:9], 0, v[14:15]
	v_mul_lo_u32 v16, s59, v8
	v_mul_lo_u32 v17, s58, v9
	v_mad_u64_u32 v[14:15], s[6:7], s58, v8, 0
	v_add3_u32 v18, v15, v17, v16
	v_sub_u32_e32 v15, v3, v18
	v_mov_b32_e32 v16, s59
	v_sub_co_u32_e32 v13, vcc, v13, v14
	s_nop 1
	v_subb_co_u32_e64 v14, s[6:7], v15, v16, vcc
	v_subrev_co_u32_e64 v15, s[6:7], s58, v13
	v_subb_co_u32_e32 v3, vcc, v3, v18, vcc
	s_nop 0
	v_subbrev_co_u32_e64 v14, s[6:7], 0, v14, s[6:7]
	v_cmp_le_u32_e64 s[6:7], s59, v14
	v_cmp_le_u32_e32 vcc, s59, v3
	s_nop 0
	v_cndmask_b32_e64 v16, 0, -1, s[6:7]
	v_cmp_le_u32_e64 s[6:7], s58, v15
	s_nop 1
	v_cndmask_b32_e64 v15, 0, -1, s[6:7]
	v_cmp_eq_u32_e64 s[6:7], s59, v14
	s_nop 1
	v_cndmask_b32_e64 v19, v16, v15, s[6:7]
	v_lshl_add_u64 v[14:15], v[8:9], 0, 2
	v_lshl_add_u64 v[16:17], v[8:9], 0, 1
	v_cmp_ne_u32_e64 s[6:7], 0, v19
	s_nop 1
	v_cndmask_b32_e64 v15, v17, v15, s[6:7]
	v_cndmask_b32_e64 v17, 0, -1, vcc
	v_cmp_le_u32_e32 vcc, s58, v13
	s_nop 1
	v_cndmask_b32_e64 v13, 0, -1, vcc
	v_cmp_eq_u32_e32 vcc, s59, v3
	s_nop 1
	v_cndmask_b32_e32 v3, v17, v13, vcc
	v_cmp_ne_u32_e32 vcc, 0, v3
	s_nop 1
	v_cndmask_b32_e32 v3, v9, v15, vcc
	v_cndmask_b32_e64 v9, v16, v14, s[6:7]
	v_cndmask_b32_e32 v8, v8, v9, vcc
	v_xor_b32_e32 v9, s56, v12
	v_xor_b32_e32 v8, v8, v9
	v_xor_b32_e32 v3, v3, v9
	v_sub_co_u32_e32 v12, vcc, v8, v9
                                        ; implicit-def: $vgpr8
	s_nop 1
	v_subb_co_u32_e32 v13, vcc, v3, v9, vcc
.LBB18_20:                              ;   in Loop: Header=BB18_3 Depth=1
	s_andn2_saveexec_b64 s[6:7], s[54:55]
	s_cbranch_execz .LBB18_22
; %bb.21:                               ;   in Loop: Header=BB18_3 Depth=1
	v_cvt_f32_u32_e32 v3, s74
	s_sub_i32 s54, 0, s74
	v_mov_b32_e32 v13, v2
	v_rcp_iflag_f32_e32 v3, v3
	s_nop 0
	v_mul_f32_e32 v3, 0x4f7ffffe, v3
	v_cvt_u32_f32_e32 v3, v3
	v_mul_lo_u32 v9, s54, v3
	v_mul_hi_u32 v9, v3, v9
	v_add_u32_e32 v3, v3, v9
	v_mul_hi_u32 v3, v8, v3
	v_mul_lo_u32 v9, v3, s74
	v_sub_u32_e32 v8, v8, v9
	v_add_u32_e32 v12, 1, v3
	v_subrev_u32_e32 v9, s74, v8
	v_cmp_le_u32_e32 vcc, s74, v8
	s_nop 1
	v_cndmask_b32_e32 v8, v8, v9, vcc
	v_cndmask_b32_e32 v3, v3, v12, vcc
	v_add_u32_e32 v9, 1, v3
	v_cmp_le_u32_e32 vcc, s74, v8
	s_nop 1
	v_cndmask_b32_e32 v12, v3, v9, vcc
.LBB18_22:                              ;   in Loop: Header=BB18_3 Depth=1
	s_or_b64 exec, exec, s[6:7]
	v_lshl_add_u64 v[8:9], v[12:13], 0, 1
.LBB18_23:                              ;   in Loop: Header=BB18_3 Depth=1
	s_or_b64 exec, exec, s[8:9]
	v_or_b32_e32 v3, s73, v11
	v_cmp_ne_u64_e32 vcc, 0, v[2:3]
                                        ; implicit-def: $vgpr12_vgpr13
	s_and_saveexec_b64 s[6:7], vcc
	s_xor_b64 s[8:9], exec, s[6:7]
	s_cbranch_execnz .LBB18_26
; %bb.24:                               ;   in Loop: Header=BB18_3 Depth=1
	s_andn2_saveexec_b64 s[6:7], s[8:9]
	s_cbranch_execnz .LBB18_27
.LBB18_25:                              ;   in Loop: Header=BB18_3 Depth=1
	s_or_b64 exec, exec, s[6:7]
	s_andn2_b64 vcc, exec, s[0:1]
	s_cbranch_vccnz .LBB18_2
	s_branch .LBB18_28
.LBB18_26:                              ;   in Loop: Header=BB18_3 Depth=1
	s_ashr_i32 s54, s73, 31
	s_add_u32 s6, s74, s54
	s_mov_b32 s55, s54
	s_addc_u32 s7, s73, s54
	s_xor_b64 s[56:57], s[6:7], s[54:55]
	v_cvt_f32_u32_e32 v3, s56
	v_cvt_f32_u32_e32 v12, s57
	s_sub_u32 s55, 0, s56
	s_subb_u32 s58, 0, s57
	v_mov_b32_e32 v15, v2
	v_fmac_f32_e32 v3, 0x4f800000, v12
	v_rcp_f32_e32 v3, v3
	s_nop 0
	v_mul_f32_e32 v3, 0x5f7ffffc, v3
	v_mul_f32_e32 v12, 0x2f800000, v3
	v_trunc_f32_e32 v12, v12
	v_fmac_f32_e32 v3, 0xcf800000, v12
	v_cvt_u32_f32_e32 v12, v12
	v_cvt_u32_f32_e32 v3, v3
	v_readfirstlane_b32 s59, v12
	v_readfirstlane_b32 s6, v3
	s_mul_i32 s7, s55, s59
	s_mul_hi_u32 s61, s55, s6
	s_mul_i32 s60, s58, s6
	s_add_i32 s7, s61, s7
	s_add_i32 s7, s7, s60
	s_mul_i32 s62, s55, s6
	s_mul_i32 s61, s6, s7
	s_mul_hi_u32 s63, s6, s62
	s_mul_hi_u32 s60, s6, s7
	s_add_u32 s61, s63, s61
	s_addc_u32 s60, 0, s60
	s_mul_hi_u32 s64, s59, s62
	s_mul_i32 s62, s59, s62
	s_add_u32 s61, s61, s62
	s_mul_hi_u32 s63, s59, s7
	s_addc_u32 s60, s60, s64
	s_addc_u32 s61, s63, 0
	s_mul_i32 s7, s59, s7
	s_add_u32 s7, s60, s7
	s_addc_u32 s60, 0, s61
	s_add_u32 s61, s6, s7
	s_cselect_b64 s[6:7], -1, 0
	s_cmp_lg_u64 s[6:7], 0
	s_addc_u32 s59, s59, s60
	s_mul_i32 s6, s55, s59
	s_mul_hi_u32 s7, s55, s61
	s_add_i32 s6, s7, s6
	s_mul_i32 s58, s58, s61
	s_add_i32 s6, s6, s58
	s_mul_i32 s55, s55, s61
	s_mul_hi_u32 s58, s59, s55
	s_mul_i32 s60, s59, s55
	s_mul_i32 s63, s61, s6
	s_mul_hi_u32 s55, s61, s55
	s_mul_hi_u32 s62, s61, s6
	s_add_u32 s55, s55, s63
	s_addc_u32 s62, 0, s62
	s_add_u32 s55, s55, s60
	s_mul_hi_u32 s7, s59, s6
	s_addc_u32 s55, s62, s58
	s_addc_u32 s7, s7, 0
	s_mul_i32 s6, s59, s6
	s_add_u32 s6, s55, s6
	s_addc_u32 s55, 0, s7
	s_add_u32 s58, s61, s6
	v_ashrrev_i32_e32 v12, 31, v11
	s_cselect_b64 s[6:7], -1, 0
	v_mov_b32_e32 v13, v12
	s_cmp_lg_u64 s[6:7], 0
	v_lshl_add_u64 v[10:11], v[10:11], 0, v[12:13]
	s_addc_u32 s55, s59, s55
	v_xor_b32_e32 v13, v10, v12
	v_xor_b32_e32 v3, v11, v12
	v_mad_u64_u32 v[10:11], s[6:7], v13, s55, 0
	v_mul_hi_u32 v14, v13, s58
	v_lshl_add_u64 v[10:11], v[14:15], 0, v[10:11]
	v_mad_u64_u32 v[16:17], s[6:7], v3, s58, 0
	v_add_co_u32_e32 v10, vcc, v10, v16
	v_mad_u64_u32 v[14:15], s[6:7], v3, s55, 0
	s_nop 0
	v_addc_co_u32_e32 v10, vcc, v11, v17, vcc
	v_mov_b32_e32 v11, v2
	s_nop 0
	v_addc_co_u32_e32 v15, vcc, 0, v15, vcc
	v_lshl_add_u64 v[10:11], v[10:11], 0, v[14:15]
	v_mul_lo_u32 v16, s57, v10
	v_mul_lo_u32 v17, s56, v11
	v_mad_u64_u32 v[14:15], s[6:7], s56, v10, 0
	v_add3_u32 v18, v15, v17, v16
	v_sub_u32_e32 v15, v3, v18
	v_mov_b32_e32 v16, s57
	v_sub_co_u32_e32 v13, vcc, v13, v14
	s_nop 1
	v_subb_co_u32_e64 v14, s[6:7], v15, v16, vcc
	v_subrev_co_u32_e64 v15, s[6:7], s56, v13
	v_subb_co_u32_e32 v3, vcc, v3, v18, vcc
	s_nop 0
	v_subbrev_co_u32_e64 v14, s[6:7], 0, v14, s[6:7]
	v_cmp_le_u32_e64 s[6:7], s57, v14
	v_cmp_le_u32_e32 vcc, s57, v3
	s_nop 0
	v_cndmask_b32_e64 v16, 0, -1, s[6:7]
	v_cmp_le_u32_e64 s[6:7], s56, v15
	s_nop 1
	v_cndmask_b32_e64 v15, 0, -1, s[6:7]
	v_cmp_eq_u32_e64 s[6:7], s57, v14
	s_nop 1
	v_cndmask_b32_e64 v19, v16, v15, s[6:7]
	v_lshl_add_u64 v[14:15], v[10:11], 0, 2
	v_lshl_add_u64 v[16:17], v[10:11], 0, 1
	v_cmp_ne_u32_e64 s[6:7], 0, v19
	s_nop 1
	v_cndmask_b32_e64 v15, v17, v15, s[6:7]
	v_cndmask_b32_e64 v17, 0, -1, vcc
	v_cmp_le_u32_e32 vcc, s56, v13
	s_nop 1
	v_cndmask_b32_e64 v13, 0, -1, vcc
	v_cmp_eq_u32_e32 vcc, s57, v3
	s_nop 1
	v_cndmask_b32_e32 v3, v17, v13, vcc
	v_cmp_ne_u32_e32 vcc, 0, v3
	s_nop 1
	v_cndmask_b32_e32 v3, v11, v15, vcc
	v_cndmask_b32_e64 v11, v16, v14, s[6:7]
	v_cndmask_b32_e32 v10, v10, v11, vcc
	v_xor_b32_e32 v11, s54, v12
	v_xor_b32_e32 v10, v10, v11
	;; [unrolled: 1-line block ×3, first 2 shown]
	v_sub_co_u32_e32 v12, vcc, v10, v11
	s_nop 1
	v_subb_co_u32_e32 v13, vcc, v3, v11, vcc
                                        ; implicit-def: $vgpr10_vgpr11
	s_andn2_saveexec_b64 s[6:7], s[8:9]
	s_cbranch_execz .LBB18_25
.LBB18_27:                              ;   in Loop: Header=BB18_3 Depth=1
	v_cvt_f32_u32_e32 v3, s74
	s_sub_i32 s8, 0, s74
	v_mov_b32_e32 v13, v2
	v_rcp_iflag_f32_e32 v3, v3
	s_nop 0
	v_mul_f32_e32 v3, 0x4f7ffffe, v3
	v_cvt_u32_f32_e32 v3, v3
	v_mul_lo_u32 v11, s8, v3
	v_mul_hi_u32 v11, v3, v11
	v_add_u32_e32 v3, v3, v11
	v_mul_hi_u32 v3, v10, v3
	v_mul_lo_u32 v11, v3, s74
	v_sub_u32_e32 v10, v10, v11
	v_add_u32_e32 v12, 1, v3
	v_subrev_u32_e32 v11, s74, v10
	v_cmp_le_u32_e32 vcc, s74, v10
	s_nop 1
	v_cndmask_b32_e32 v10, v10, v11, vcc
	v_cndmask_b32_e32 v3, v3, v12, vcc
	v_add_u32_e32 v11, 1, v3
	v_cmp_le_u32_e32 vcc, s74, v10
	s_nop 1
	v_cndmask_b32_e32 v12, v3, v11, vcc
	s_or_b64 exec, exec, s[6:7]
	s_andn2_b64 vcc, exec, s[0:1]
	s_cbranch_vccnz .LBB18_2
.LBB18_28:                              ;   in Loop: Header=BB18_3 Depth=1
	v_lshl_add_u64 v[10:11], v[12:13], 0, 1
	v_mov_b32_e32 v3, s27
	v_cmp_gt_i64_e32 vcc, s[26:27], v[10:11]
	v_lshl_add_u64 v[6:7], v[6:7], 0, 1
	s_load_dword s75, s[28:29], 0x4
	v_cndmask_b32_e32 v11, v3, v11, vcc
	v_mov_b32_e32 v3, s26
	v_cndmask_b32_e32 v10, v3, v10, vcc
	v_mov_b32_e32 v3, s25
	v_cmp_gt_i64_e32 vcc, s[24:25], v[6:7]
	v_lshl_add_u64 v[14:15], s[44:45], 0, v[4:5]
	v_mul_lo_u32 v16, s27, v14
	v_cndmask_b32_e32 v7, v3, v7, vcc
	v_mov_b32_e32 v3, s24
	v_cndmask_b32_e32 v6, v3, v6, vcc
	v_mul_lo_u32 v3, s26, v15
	v_mad_u64_u32 v[14:15], s[54:55], s26, v14, v[8:9]
	v_add3_u32 v15, v16, v15, v3
	v_lshlrev_b64 v[16:17], 3, v[14:15]
	s_waitcnt lgkmcnt(0)
	s_mul_i32 s54, s47, s75
	s_mul_hi_u32 s55, s46, s75
	v_lshl_add_u64 v[12:13], v[0:1], 3, s[30:31]
	v_cmp_lt_i64_e64 s[6:7], v[4:5], v[6:7]
	v_cmp_lt_i64_e64 s[8:9], v[8:9], v[10:11]
	v_lshl_add_u64 v[14:15], s[14:15], 0, v[16:17]
	s_add_i32 s55, s55, s54
	s_mul_i32 s54, s46, s75
	v_lshl_add_u64 v[16:17], s[12:13], 0, v[16:17]
	s_mov_b64 s[56:57], s[10:11]
	s_branch .LBB18_30
.LBB18_29:                              ;   in Loop: Header=BB18_30 Depth=2
	s_add_u32 s56, s56, s75
	s_addc_u32 s57, s57, 0
	v_mov_b64_e32 v[18:19], s[16:17]
	v_cmp_ge_i64_e32 vcc, s[56:57], v[18:19]
	v_lshl_add_u64 v[14:15], v[14:15], 0, s[54:55]
	v_lshl_add_u64 v[16:17], v[16:17], 0, s[54:55]
	s_cbranch_vccnz .LBB18_2
.LBB18_30:                              ;   Parent Loop BB18_3 Depth=1
                                        ; =>  This Loop Header: Depth=2
                                        ;       Child Loop BB18_34 Depth 3
                                        ;         Child Loop BB18_38 Depth 4
                                        ;           Child Loop BB18_41 Depth 5
	s_andn2_b64 vcc, exec, s[2:3]
	s_cbranch_vccnz .LBB18_29
; %bb.31:                               ;   in Loop: Header=BB18_30 Depth=2
	s_load_dword s76, s[28:29], 0x8
	s_mul_i32 s58, s56, s19
	s_mul_hi_u32 s59, s56, s18
	s_add_i32 s58, s59, s58
	s_mul_i32 s59, s57, s18
	s_add_i32 s77, s58, s59
	s_waitcnt lgkmcnt(0)
	s_mul_i32 s58, s49, s76
	s_mul_hi_u32 s59, s48, s76
	s_mul_i32 s78, s56, s18
	s_add_i32 s59, s59, s58
	s_mul_i32 s58, s48, s76
	v_mov_b64_e32 v[18:19], v[16:17]
	v_mov_b64_e32 v[20:21], v[14:15]
	s_mov_b64 s[60:61], s[4:5]
	s_branch .LBB18_34
.LBB18_32:                              ;   in Loop: Header=BB18_34 Depth=3
	s_or_b64 exec, exec, s[64:65]
.LBB18_33:                              ;   in Loop: Header=BB18_34 Depth=3
	s_or_b64 exec, exec, s[62:63]
	s_add_u32 s62, s60, s78
	s_addc_u32 s63, s61, s77
	s_mul_i32 s63, s20, s63
	s_mul_hi_u32 s64, s20, s62
	s_add_i32 s63, s64, s63
	s_mul_i32 s64, s21, s62
	s_add_i32 s63, s63, s64
	s_mul_i32 s62, s20, s62
	v_lshl_add_u64 v[24:25], s[62:63], 3, v[12:13]
	s_add_u32 s60, s60, s76
	global_store_dwordx2 v[24:25], v[22:23], off
	s_addc_u32 s61, s61, 0
	v_mov_b64_e32 v[22:23], s[18:19]
	v_cmp_ge_i64_e32 vcc, s[60:61], v[22:23]
	v_lshl_add_u64 v[20:21], v[20:21], 0, s[58:59]
	v_lshl_add_u64 v[18:19], v[18:19], 0, s[58:59]
	s_cbranch_vccnz .LBB18_29
.LBB18_34:                              ;   Parent Loop BB18_3 Depth=1
                                        ;     Parent Loop BB18_30 Depth=2
                                        ; =>    This Loop Header: Depth=3
                                        ;         Child Loop BB18_38 Depth 4
                                        ;           Child Loop BB18_41 Depth 5
	v_mov_b64_e32 v[22:23], 0
	s_and_saveexec_b64 s[62:63], s[6:7]
	s_cbranch_execz .LBB18_33
; %bb.35:                               ;   in Loop: Header=BB18_34 Depth=3
	v_mov_b64_e32 v[22:23], 0
	s_mov_b64 s[64:65], 0
	v_mov_b64_e32 v[24:25], v[18:19]
	v_mov_b64_e32 v[26:27], v[20:21]
	v_mov_b64_e32 v[28:29], v[4:5]
	s_branch .LBB18_38
.LBB18_36:                              ;   in Loop: Header=BB18_38 Depth=4
	s_or_b64 exec, exec, s[68:69]
.LBB18_37:                              ;   in Loop: Header=BB18_38 Depth=4
	s_or_b64 exec, exec, s[66:67]
	v_lshl_add_u64 v[28:29], v[28:29], 0, 1
	v_cmp_ge_i64_e32 vcc, v[28:29], v[6:7]
	v_lshl_add_u64 v[26:27], v[26:27], 0, s[50:51]
	s_or_b64 s[64:65], vcc, s[64:65]
	v_lshl_add_u64 v[24:25], v[24:25], 0, s[50:51]
	s_andn2_b64 exec, exec, s[64:65]
	s_cbranch_execz .LBB18_32
.LBB18_38:                              ;   Parent Loop BB18_3 Depth=1
                                        ;     Parent Loop BB18_30 Depth=2
                                        ;       Parent Loop BB18_34 Depth=3
                                        ; =>      This Loop Header: Depth=4
                                        ;           Child Loop BB18_41 Depth 5
	s_and_saveexec_b64 s[66:67], s[8:9]
	s_cbranch_execz .LBB18_37
; %bb.39:                               ;   in Loop: Header=BB18_38 Depth=4
	s_mov_b64 s[68:69], 0
	v_mov_b64_e32 v[30:31], v[24:25]
	v_mov_b64_e32 v[32:33], v[26:27]
	;; [unrolled: 1-line block ×3, first 2 shown]
	s_branch .LBB18_41
.LBB18_40:                              ;   in Loop: Header=BB18_41 Depth=5
	s_or_b64 exec, exec, s[70:71]
	v_lshl_add_u64 v[34:35], v[34:35], 0, 1
	v_cmp_ge_i64_e32 vcc, v[34:35], v[10:11]
	v_lshl_add_u64 v[32:33], v[32:33], 0, 8
	s_or_b64 s[68:69], vcc, s[68:69]
	v_lshl_add_u64 v[30:31], v[30:31], 0, 8
	s_andn2_b64 exec, exec, s[68:69]
	s_cbranch_execz .LBB18_36
.LBB18_41:                              ;   Parent Loop BB18_3 Depth=1
                                        ;     Parent Loop BB18_30 Depth=2
                                        ;       Parent Loop BB18_34 Depth=3
                                        ;         Parent Loop BB18_38 Depth=4
                                        ; =>        This Inner Loop Header: Depth=5
	global_load_dwordx2 v[38:39], v[32:33], off
	s_waitcnt vmcnt(0)
	v_cmp_eq_u64_e32 vcc, v[38:39], v[0:1]
	s_and_saveexec_b64 s[70:71], vcc
	s_cbranch_execz .LBB18_40
; %bb.42:                               ;   in Loop: Header=BB18_41 Depth=5
	global_load_dwordx2 v[38:39], v[30:31], off
	s_waitcnt vmcnt(0)
	v_add_f64 v[22:23], v[22:23], v[38:39]
	s_branch .LBB18_40
.LBB18_43:
	s_endpgm
	.section	.rodata,"a",@progbits
	.p2align	6, 0x0
	.amdhsa_kernel _ZN2at6native12_GLOBAL__N_122max_pool_backward_nchwIddlEEvPKT_PKlT1_S8_S8_S8_S8_S8_iiiiiiiiPS3_
		.amdhsa_group_segment_fixed_size 0
		.amdhsa_private_segment_fixed_size 0
		.amdhsa_kernarg_size 360
		.amdhsa_user_sgpr_count 2
		.amdhsa_user_sgpr_dispatch_ptr 0
		.amdhsa_user_sgpr_queue_ptr 0
		.amdhsa_user_sgpr_kernarg_segment_ptr 1
		.amdhsa_user_sgpr_dispatch_id 0
		.amdhsa_user_sgpr_kernarg_preload_length 0
		.amdhsa_user_sgpr_kernarg_preload_offset 0
		.amdhsa_user_sgpr_private_segment_size 0
		.amdhsa_uses_dynamic_stack 0
		.amdhsa_enable_private_segment 0
		.amdhsa_system_sgpr_workgroup_id_x 1
		.amdhsa_system_sgpr_workgroup_id_y 1
		.amdhsa_system_sgpr_workgroup_id_z 1
		.amdhsa_system_sgpr_workgroup_info 0
		.amdhsa_system_vgpr_workitem_id 0
		.amdhsa_next_free_vgpr 40
		.amdhsa_next_free_sgpr 79
		.amdhsa_accum_offset 40
		.amdhsa_reserve_vcc 1
		.amdhsa_float_round_mode_32 0
		.amdhsa_float_round_mode_16_64 0
		.amdhsa_float_denorm_mode_32 3
		.amdhsa_float_denorm_mode_16_64 3
		.amdhsa_dx10_clamp 1
		.amdhsa_ieee_mode 1
		.amdhsa_fp16_overflow 0
		.amdhsa_tg_split 0
		.amdhsa_exception_fp_ieee_invalid_op 0
		.amdhsa_exception_fp_denorm_src 0
		.amdhsa_exception_fp_ieee_div_zero 0
		.amdhsa_exception_fp_ieee_overflow 0
		.amdhsa_exception_fp_ieee_underflow 0
		.amdhsa_exception_fp_ieee_inexact 0
		.amdhsa_exception_int_div_zero 0
	.end_amdhsa_kernel
	.section	.text._ZN2at6native12_GLOBAL__N_122max_pool_backward_nchwIddlEEvPKT_PKlT1_S8_S8_S8_S8_S8_iiiiiiiiPS3_,"axG",@progbits,_ZN2at6native12_GLOBAL__N_122max_pool_backward_nchwIddlEEvPKT_PKlT1_S8_S8_S8_S8_S8_iiiiiiiiPS3_,comdat
.Lfunc_end18:
	.size	_ZN2at6native12_GLOBAL__N_122max_pool_backward_nchwIddlEEvPKT_PKlT1_S8_S8_S8_S8_S8_iiiiiiiiPS3_, .Lfunc_end18-_ZN2at6native12_GLOBAL__N_122max_pool_backward_nchwIddlEEvPKT_PKlT1_S8_S8_S8_S8_S8_iiiiiiiiPS3_
                                        ; -- End function
	.set _ZN2at6native12_GLOBAL__N_122max_pool_backward_nchwIddlEEvPKT_PKlT1_S8_S8_S8_S8_S8_iiiiiiiiPS3_.num_vgpr, 40
	.set _ZN2at6native12_GLOBAL__N_122max_pool_backward_nchwIddlEEvPKT_PKlT1_S8_S8_S8_S8_S8_iiiiiiiiPS3_.num_agpr, 0
	.set _ZN2at6native12_GLOBAL__N_122max_pool_backward_nchwIddlEEvPKT_PKlT1_S8_S8_S8_S8_S8_iiiiiiiiPS3_.numbered_sgpr, 79
	.set _ZN2at6native12_GLOBAL__N_122max_pool_backward_nchwIddlEEvPKT_PKlT1_S8_S8_S8_S8_S8_iiiiiiiiPS3_.num_named_barrier, 0
	.set _ZN2at6native12_GLOBAL__N_122max_pool_backward_nchwIddlEEvPKT_PKlT1_S8_S8_S8_S8_S8_iiiiiiiiPS3_.private_seg_size, 0
	.set _ZN2at6native12_GLOBAL__N_122max_pool_backward_nchwIddlEEvPKT_PKlT1_S8_S8_S8_S8_S8_iiiiiiiiPS3_.uses_vcc, 1
	.set _ZN2at6native12_GLOBAL__N_122max_pool_backward_nchwIddlEEvPKT_PKlT1_S8_S8_S8_S8_S8_iiiiiiiiPS3_.uses_flat_scratch, 0
	.set _ZN2at6native12_GLOBAL__N_122max_pool_backward_nchwIddlEEvPKT_PKlT1_S8_S8_S8_S8_S8_iiiiiiiiPS3_.has_dyn_sized_stack, 0
	.set _ZN2at6native12_GLOBAL__N_122max_pool_backward_nchwIddlEEvPKT_PKlT1_S8_S8_S8_S8_S8_iiiiiiiiPS3_.has_recursion, 0
	.set _ZN2at6native12_GLOBAL__N_122max_pool_backward_nchwIddlEEvPKT_PKlT1_S8_S8_S8_S8_S8_iiiiiiiiPS3_.has_indirect_call, 0
	.section	.AMDGPU.csdata,"",@progbits
; Kernel info:
; codeLenInByte = 5120
; TotalNumSgprs: 85
; NumVgprs: 40
; NumAgprs: 0
; TotalNumVgprs: 40
; ScratchSize: 0
; MemoryBound: 1
; FloatMode: 240
; IeeeMode: 1
; LDSByteSize: 0 bytes/workgroup (compile time only)
; SGPRBlocks: 10
; VGPRBlocks: 4
; NumSGPRsForWavesPerEU: 85
; NumVGPRsForWavesPerEU: 40
; AccumOffset: 40
; Occupancy: 8
; WaveLimiterHint : 0
; COMPUTE_PGM_RSRC2:SCRATCH_EN: 0
; COMPUTE_PGM_RSRC2:USER_SGPR: 2
; COMPUTE_PGM_RSRC2:TRAP_HANDLER: 0
; COMPUTE_PGM_RSRC2:TGID_X_EN: 1
; COMPUTE_PGM_RSRC2:TGID_Y_EN: 1
; COMPUTE_PGM_RSRC2:TGID_Z_EN: 1
; COMPUTE_PGM_RSRC2:TIDIG_COMP_CNT: 0
; COMPUTE_PGM_RSRC3_GFX90A:ACCUM_OFFSET: 9
; COMPUTE_PGM_RSRC3_GFX90A:TG_SPLIT: 0
	.section	.text._ZN2at6native12_GLOBAL__N_122max_pool_backward_nhwcIffEEvPKT_PKlillliiiiiiiiiiiiiiiPS3_,"axG",@progbits,_ZN2at6native12_GLOBAL__N_122max_pool_backward_nhwcIffEEvPKT_PKlillliiiiiiiiiiiiiiiPS3_,comdat
	.globl	_ZN2at6native12_GLOBAL__N_122max_pool_backward_nhwcIffEEvPKT_PKlillliiiiiiiiiiiiiiiPS3_ ; -- Begin function _ZN2at6native12_GLOBAL__N_122max_pool_backward_nhwcIffEEvPKT_PKlillliiiiiiiiiiiiiiiPS3_
	.p2align	8
	.type	_ZN2at6native12_GLOBAL__N_122max_pool_backward_nhwcIffEEvPKT_PKlillliiiiiiiiiiiiiiiPS3_,@function
_ZN2at6native12_GLOBAL__N_122max_pool_backward_nhwcIffEEvPKT_PKlillliiiiiiiiiiiiiiiPS3_: ; @_ZN2at6native12_GLOBAL__N_122max_pool_backward_nhwcIffEEvPKT_PKlillliiiiiiiiiiiiiiiPS3_
; %bb.0:
	s_load_dword s40, s[0:1], 0x10
	s_load_dwordx4 s[8:11], s[0:1], 0x7c
	s_load_dwordx8 s[12:19], s[0:1], 0x30
	s_load_dwordx8 s[20:27], s[0:1], 0x50
	v_and_b32_e32 v6, 0x3ff, v0
	s_waitcnt lgkmcnt(0)
	v_cvt_f32_u32_e32 v1, s40
	v_bfe_u32 v2, v0, 10, 10
	v_bfe_u32 v3, v0, 20, 10
	s_lshr_b32 s62, s10, 16
	v_rcp_iflag_f32_e32 v1, v1
	s_and_b32 s27, s10, 0xffff
	v_mad_u32_u24 v7, v3, s62, v2
	s_sub_i32 s5, 0, s40
	v_mul_f32_e32 v0, 0x4f7ffffe, v1
	v_cvt_u32_f32_e32 v4, v0
	v_mad_u64_u32 v[0:1], s[6:7], v7, s27, v[6:7]
	s_and_b32 s33, s11, 0xffff
	v_readfirstlane_b32 s6, v4
	s_mul_i32 s5, s5, s6
	s_mul_hi_u32 s5, s6, s5
	s_add_i32 s6, s6, s5
	s_mul_i32 s5, s26, s27
	s_mul_i32 s5, s5, s62
	;; [unrolled: 1-line block ×3, first 2 shown]
	s_mul_hi_u32 s41, s2, s6
	v_cmp_gt_u32_e32 vcc, s5, v0
	s_and_saveexec_b64 s[6:7], vcc
	s_cbranch_execz .LBB19_3
; %bb.1:
	s_mul_i32 s28, s62, s27
	s_mul_i32 s28, s28, s33
	v_lshl_add_u32 v1, v0, 2, 0
	s_lshl_b32 s29, s28, 2
	s_mov_b64 s[10:11], 0
	v_mov_b32_e32 v4, 0
.LBB19_2:                               ; =>This Inner Loop Header: Depth=1
	v_add_u32_e32 v0, s28, v0
	v_cmp_le_u32_e32 vcc, s5, v0
	ds_write_b32 v1, v4
	s_or_b64 s[10:11], vcc, s[10:11]
	v_add_u32_e32 v1, s29, v1
	s_andn2_b64 exec, exec, s[10:11]
	s_cbranch_execnz .LBB19_2
.LBB19_3:
	s_or_b64 exec, exec, s[6:7]
	s_load_dwordx4 s[28:31], s[0:1], 0x18
	s_load_dwordx2 s[10:11], s[0:1], 0x28
	s_mov_b32 s5, s9
	s_mov_b32 s36, 0
	s_mov_b64 s[34:35], -1
	s_waitcnt lgkmcnt(0)
	s_add_u32 s6, s30, s9
	s_addc_u32 s7, s31, 0
	s_add_u32 s9, s6, -1
	s_addc_u32 s37, s7, -1
	s_cmp_lg_u64 s[36:37], 0
	s_barrier
	s_cbranch_scc0 .LBB19_60
; %bb.4:
	s_add_u32 s6, s5, 0
	s_addc_u32 s7, 0, 0
	s_xor_b64 s[6:7], s[6:7], 0
	v_cvt_f32_u32_e32 v0, s6
	v_cvt_f32_u32_e32 v1, s7
	s_sub_u32 s36, 0, s6
	s_subb_u32 s42, 0, s7
	v_fmamk_f32 v0, v1, 0x4f800000, v0
	v_rcp_f32_e32 v0, v0
	s_nop 0
	v_mul_f32_e32 v0, 0x5f7ffffc, v0
	v_mul_f32_e32 v1, 0x2f800000, v0
	v_trunc_f32_e32 v1, v1
	v_fmamk_f32 v0, v1, 0xcf800000, v0
	v_cvt_u32_f32_e32 v1, v1
	v_cvt_u32_f32_e32 v0, v0
	v_readfirstlane_b32 s43, v1
	v_readfirstlane_b32 s38, v0
	s_mul_i32 s39, s36, s43
	s_mul_hi_u32 s45, s36, s38
	s_mul_i32 s44, s42, s38
	s_add_i32 s39, s45, s39
	s_add_i32 s39, s39, s44
	s_mul_i32 s46, s36, s38
	s_mul_i32 s45, s38, s39
	s_mul_hi_u32 s47, s38, s46
	s_mul_hi_u32 s44, s38, s39
	s_add_u32 s45, s47, s45
	s_addc_u32 s44, 0, s44
	s_mul_hi_u32 s48, s43, s46
	s_mul_i32 s46, s43, s46
	s_add_u32 s45, s45, s46
	s_mul_hi_u32 s47, s43, s39
	s_addc_u32 s44, s44, s48
	s_addc_u32 s45, s47, 0
	s_mul_i32 s39, s43, s39
	s_add_u32 s39, s44, s39
	s_addc_u32 s44, 0, s45
	s_add_u32 s45, s38, s39
	s_cselect_b64 s[38:39], -1, 0
	s_cmp_lg_u64 s[38:39], 0
	s_addc_u32 s43, s43, s44
	s_mul_i32 s38, s36, s43
	s_mul_hi_u32 s39, s36, s45
	s_add_i32 s38, s39, s38
	s_mul_i32 s42, s42, s45
	s_add_i32 s38, s38, s42
	s_mul_i32 s36, s36, s45
	s_mul_hi_u32 s42, s43, s36
	s_mul_i32 s44, s43, s36
	s_mul_i32 s47, s45, s38
	s_mul_hi_u32 s36, s45, s36
	s_mul_hi_u32 s46, s45, s38
	s_add_u32 s36, s36, s47
	s_addc_u32 s46, 0, s46
	s_add_u32 s36, s36, s44
	s_mul_hi_u32 s39, s43, s38
	s_addc_u32 s36, s46, s42
	s_addc_u32 s39, s39, 0
	s_mul_i32 s38, s43, s38
	s_add_u32 s36, s36, s38
	s_addc_u32 s42, 0, s39
	s_add_u32 s44, s45, s36
	s_cselect_b64 s[38:39], -1, 0
	s_cmp_lg_u64 s[38:39], 0
	s_addc_u32 s42, s43, s42
	s_ashr_i32 s38, s37, 31
	s_add_u32 s36, s9, s38
	s_mov_b32 s39, s38
	s_addc_u32 s37, s37, s38
	s_xor_b64 s[36:37], s[36:37], s[38:39]
	s_mul_i32 s45, s36, s42
	s_mul_hi_u32 s46, s36, s44
	s_mul_hi_u32 s43, s36, s42
	s_add_u32 s45, s46, s45
	s_addc_u32 s43, 0, s43
	s_mul_hi_u32 s47, s37, s44
	s_mul_i32 s44, s37, s44
	s_add_u32 s44, s45, s44
	s_mul_hi_u32 s46, s37, s42
	s_addc_u32 s43, s43, s47
	s_addc_u32 s44, s46, 0
	s_mul_i32 s42, s37, s42
	s_add_u32 s46, s43, s42
	s_addc_u32 s47, 0, s44
	s_mul_i32 s42, s6, s47
	s_mul_hi_u32 s43, s6, s46
	s_add_i32 s42, s43, s42
	s_mul_i32 s43, s7, s46
	s_add_i32 s48, s42, s43
	s_sub_i32 s44, s37, s48
	s_mul_i32 s42, s6, s46
	s_sub_u32 s36, s36, s42
	s_cselect_b64 s[42:43], -1, 0
	s_cmp_lg_u64 s[42:43], 0
	s_subb_u32 s49, s44, s7
	s_sub_u32 s50, s36, s6
	s_cselect_b64 s[44:45], -1, 0
	s_cmp_lg_u64 s[44:45], 0
	s_subb_u32 s44, s49, 0
	s_cmp_ge_u32 s44, s7
	s_cselect_b32 s45, -1, 0
	s_cmp_ge_u32 s50, s6
	s_cselect_b32 s49, -1, 0
	s_cmp_eq_u32 s44, s7
	s_cselect_b32 s44, s49, s45
	s_add_u32 s45, s46, 1
	s_addc_u32 s49, s47, 0
	s_add_u32 s50, s46, 2
	s_addc_u32 s51, s47, 0
	s_cmp_lg_u32 s44, 0
	s_cselect_b32 s44, s50, s45
	s_cselect_b32 s45, s51, s49
	s_cmp_lg_u64 s[42:43], 0
	s_subb_u32 s37, s37, s48
	s_cmp_ge_u32 s37, s7
	s_cselect_b32 s42, -1, 0
	s_cmp_ge_u32 s36, s6
	s_cselect_b32 s6, -1, 0
	s_cmp_eq_u32 s37, s7
	s_cselect_b32 s6, s6, s42
	s_cmp_lg_u32 s6, 0
	s_cselect_b32 s7, s45, s47
	s_cselect_b32 s6, s44, s46
	s_xor_b64 s[36:37], s[38:39], 0
	s_xor_b64 s[6:7], s[6:7], s[36:37]
	s_sub_u32 s6, s6, s36
	s_subb_u32 s7, s7, s37
	s_cbranch_execnz .LBB19_6
.LBB19_5:
	v_cvt_f32_u32_e32 v0, s5
	s_sub_i32 s6, 0, s5
	s_mov_b32 s7, 0
	v_rcp_iflag_f32_e32 v0, v0
	s_nop 0
	v_mul_f32_e32 v0, 0x4f7ffffe, v0
	v_cvt_u32_f32_e32 v0, v0
	s_nop 0
	v_readfirstlane_b32 s34, v0
	s_mul_i32 s6, s6, s34
	s_mul_hi_u32 s6, s34, s6
	s_add_i32 s34, s34, s6
	s_mul_hi_u32 s6, s9, s34
	s_mul_i32 s35, s6, s5
	s_sub_i32 s9, s9, s35
	s_add_i32 s34, s6, 1
	s_sub_i32 s35, s9, s5
	s_cmp_ge_u32 s9, s5
	s_cselect_b32 s6, s34, s6
	s_cselect_b32 s9, s35, s9
	s_add_i32 s34, s6, 1
	s_cmp_ge_u32 s9, s5
	s_cselect_b32 s6, s34, s6
.LBB19_6:
	s_add_u32 s5, s10, s8
	s_addc_u32 s9, s11, 0
	s_add_u32 s5, s5, -1
	s_mov_b32 s38, 0
	s_addc_u32 s39, s9, -1
	s_cmp_lg_u64 s[38:39], 0
	s_mov_b64 s[34:35], -1
	s_cbranch_scc0 .LBB19_61
; %bb.7:
	s_add_u32 s34, s8, 0
	s_addc_u32 s35, 0, 0
	s_xor_b64 s[36:37], s[34:35], 0
	v_cvt_f32_u32_e32 v0, s36
	v_cvt_f32_u32_e32 v1, s37
	s_sub_u32 s9, 0, s36
	s_subb_u32 s38, 0, s37
	v_fmamk_f32 v0, v1, 0x4f800000, v0
	v_rcp_f32_e32 v0, v0
	s_nop 0
	v_mul_f32_e32 v0, 0x5f7ffffc, v0
	v_mul_f32_e32 v1, 0x2f800000, v0
	v_trunc_f32_e32 v1, v1
	v_fmamk_f32 v0, v1, 0xcf800000, v0
	v_cvt_u32_f32_e32 v1, v1
	v_cvt_u32_f32_e32 v0, v0
	v_readfirstlane_b32 s44, v1
	v_readfirstlane_b32 s42, v0
	s_mul_i32 s43, s9, s44
	s_mul_hi_u32 s46, s9, s42
	s_mul_i32 s45, s38, s42
	s_add_i32 s43, s46, s43
	s_add_i32 s43, s43, s45
	s_mul_i32 s47, s9, s42
	s_mul_i32 s46, s42, s43
	s_mul_hi_u32 s48, s42, s47
	s_mul_hi_u32 s45, s42, s43
	s_add_u32 s46, s48, s46
	s_addc_u32 s45, 0, s45
	s_mul_hi_u32 s49, s44, s47
	s_mul_i32 s47, s44, s47
	s_add_u32 s46, s46, s47
	s_mul_hi_u32 s48, s44, s43
	s_addc_u32 s45, s45, s49
	s_addc_u32 s46, s48, 0
	s_mul_i32 s43, s44, s43
	s_add_u32 s43, s45, s43
	s_addc_u32 s45, 0, s46
	s_add_u32 s46, s42, s43
	s_cselect_b64 s[42:43], -1, 0
	s_cmp_lg_u64 s[42:43], 0
	s_addc_u32 s44, s44, s45
	s_mul_i32 s42, s9, s44
	s_mul_hi_u32 s43, s9, s46
	s_add_i32 s42, s43, s42
	s_mul_i32 s38, s38, s46
	s_add_i32 s42, s42, s38
	s_mul_i32 s9, s9, s46
	s_mul_hi_u32 s43, s44, s9
	s_mul_i32 s45, s44, s9
	s_mul_i32 s48, s46, s42
	s_mul_hi_u32 s9, s46, s9
	s_mul_hi_u32 s47, s46, s42
	s_add_u32 s9, s9, s48
	s_addc_u32 s47, 0, s47
	s_add_u32 s9, s9, s45
	s_mul_hi_u32 s38, s44, s42
	s_addc_u32 s9, s47, s43
	s_addc_u32 s38, s38, 0
	s_mul_i32 s42, s44, s42
	s_add_u32 s9, s9, s42
	s_addc_u32 s38, 0, s38
	s_add_u32 s9, s46, s9
	s_cselect_b64 s[42:43], -1, 0
	s_cmp_lg_u64 s[42:43], 0
	s_addc_u32 s44, s44, s38
	s_ashr_i32 s42, s39, 31
	s_add_u32 s38, s5, s42
	s_mov_b32 s43, s42
	s_addc_u32 s39, s39, s42
	s_xor_b64 s[38:39], s[38:39], s[42:43]
	s_mul_i32 s46, s38, s44
	s_mul_hi_u32 s47, s38, s9
	s_mul_hi_u32 s45, s38, s44
	s_add_u32 s46, s47, s46
	s_addc_u32 s45, 0, s45
	s_mul_hi_u32 s48, s39, s9
	s_mul_i32 s9, s39, s9
	s_add_u32 s9, s46, s9
	s_mul_hi_u32 s47, s39, s44
	s_addc_u32 s9, s45, s48
	s_addc_u32 s45, s47, 0
	s_mul_i32 s44, s39, s44
	s_add_u32 s9, s9, s44
	s_addc_u32 s48, 0, s45
	s_mul_i32 s44, s36, s48
	s_mul_hi_u32 s45, s36, s9
	s_add_i32 s44, s45, s44
	s_mul_i32 s45, s37, s9
	s_add_i32 s49, s44, s45
	s_sub_i32 s46, s39, s49
	s_mul_i32 s44, s36, s9
	s_sub_u32 s38, s38, s44
	s_cselect_b64 s[44:45], -1, 0
	s_cmp_lg_u64 s[44:45], 0
	s_subb_u32 s50, s46, s37
	s_sub_u32 s51, s38, s36
	s_cselect_b64 s[46:47], -1, 0
	s_cmp_lg_u64 s[46:47], 0
	s_subb_u32 s46, s50, 0
	s_cmp_ge_u32 s46, s37
	s_cselect_b32 s47, -1, 0
	s_cmp_ge_u32 s51, s36
	s_cselect_b32 s50, -1, 0
	s_cmp_eq_u32 s46, s37
	s_cselect_b32 s46, s50, s47
	s_add_u32 s47, s9, 1
	s_addc_u32 s50, s48, 0
	s_add_u32 s51, s9, 2
	s_addc_u32 s52, s48, 0
	s_cmp_lg_u32 s46, 0
	s_cselect_b32 s46, s51, s47
	s_cselect_b32 s47, s52, s50
	s_cmp_lg_u64 s[44:45], 0
	s_subb_u32 s39, s39, s49
	s_cmp_ge_u32 s39, s37
	s_cselect_b32 s44, -1, 0
	s_cmp_ge_u32 s38, s36
	s_cselect_b32 s36, -1, 0
	s_cmp_eq_u32 s39, s37
	s_cselect_b32 s36, s36, s44
	s_cmp_lg_u32 s36, 0
	s_cselect_b32 s37, s47, s48
	s_cselect_b32 s36, s46, s9
	s_xor_b64 s[38:39], s[42:43], 0
	s_xor_b64 s[36:37], s[36:37], s[38:39]
	s_sub_u32 s36, s36, s38
	s_subb_u32 s37, s37, s39
	s_cbranch_execnz .LBB19_9
.LBB19_8:
	v_cvt_f32_u32_e32 v0, s8
	s_sub_i32 s9, 0, s8
	s_mov_b32 s37, 0
	v_rcp_iflag_f32_e32 v0, v0
	s_nop 0
	v_mul_f32_e32 v0, 0x4f7ffffe, v0
	v_cvt_u32_f32_e32 v0, v0
	s_nop 0
	v_readfirstlane_b32 s34, v0
	s_mul_i32 s9, s9, s34
	s_mul_hi_u32 s9, s34, s9
	s_add_i32 s34, s34, s9
	s_mul_hi_u32 s9, s5, s34
	s_mul_i32 s35, s9, s8
	s_sub_i32 s5, s5, s35
	s_add_i32 s34, s9, 1
	s_sub_i32 s35, s5, s8
	s_cmp_ge_u32 s5, s8
	s_cselect_b32 s9, s34, s9
	s_cselect_b32 s5, s35, s5
	s_add_i32 s34, s9, 1
	s_cmp_ge_u32 s5, s8
	s_cselect_b32 s36, s34, s9
.LBB19_9:
	s_mul_i32 s4, s4, s6
	v_add_u32_e32 v0, s4, v3
	v_ashrrev_i32_e32 v1, 31, v0
	s_bfe_i64 s[4:5], s[6:7], 0x200000
	v_lshl_add_u64 v[4:5], s[4:5], 0, v[0:1]
	v_mov_b32_e32 v1, s30
	v_cmp_gt_i64_e32 vcc, s[30:31], v[4:5]
	s_nop 1
	v_cndmask_b32_e32 v1, v1, v4, vcc
	v_cmp_lt_i32_e32 vcc, v0, v1
	s_and_saveexec_b64 s[4:5], vcc
	s_cbranch_execz .LBB19_59
; %bb.10:
	s_mul_i32 s3, s3, s36
	v_add_u32_e32 v2, s3, v2
	v_ashrrev_i32_e32 v3, 31, v2
	s_bfe_i64 s[4:5], s[36:37], 0x200000
	v_lshl_add_u64 v[4:5], s[4:5], 0, v[2:3]
	s_load_dwordx4 s[4:7], s[0:1], 0x0
	s_load_dwordx2 s[8:9], s[0:1], 0x70
	s_mul_i32 s0, s41, s40
	s_sub_i32 s0, s2, s0
	s_add_i32 s1, s41, 1
	s_sub_i32 s3, s0, s40
	s_cmp_ge_u32 s0, s40
	s_cselect_b32 s1, s1, s41
	s_cselect_b32 s0, s3, s0
	s_add_i32 s3, s1, 1
	s_cmp_ge_u32 s0, s40
	s_cselect_b32 s38, s3, s1
	s_mul_i32 s1, s30, s29
	s_mul_hi_u32 s3, s30, s28
	s_add_i32 s1, s3, s1
	s_mul_i32 s3, s31, s28
	s_mul_i32 s0, s38, s40
	s_add_i32 s1, s1, s3
	s_mul_i32 s3, s30, s28
	v_cmp_gt_i64_e32 vcc, s[10:11], v[4:5]
	s_sub_i32 s2, s2, s0
	s_mul_i32 s11, s3, s11
	s_mul_hi_u32 s30, s3, s10
	s_ashr_i32 s0, s2, 31
	s_add_i32 s11, s30, s11
	s_mul_i32 s1, s1, s10
	s_mul_i32 s3, s3, s10
	s_add_i32 s1, s11, s1
	s_mul_i32 s0, s3, s0
	s_mul_hi_u32 s11, s3, s2
	s_mul_i32 s1, s1, s2
	s_add_i32 s0, s11, s0
	s_add_i32 s1, s0, s1
	s_mul_i32 s0, s3, s2
	s_lshl_b64 s[0:1], s[0:1], 2
	s_waitcnt lgkmcnt(0)
	s_add_u32 s30, s8, s0
	s_mul_i32 s0, s13, s12
	s_mul_i32 s0, s0, s2
	s_addc_u32 s31, s9, s1
	s_ashr_i32 s1, s0, 31
	s_mul_i32 s1, s28, s1
	s_mul_hi_u32 s2, s28, s0
	s_add_i32 s1, s2, s1
	s_mul_i32 s2, s29, s0
	s_add_i32 s1, s1, s2
	s_mul_i32 s0, s28, s0
	s_lshl_b64 s[2:3], s[0:1], 3
	s_add_u32 s34, s6, s2
	s_addc_u32 s35, s7, s3
	s_lshl_b64 s[0:1], s[0:1], 2
	s_add_u32 s36, s4, s0
	s_addc_u32 s37, s5, s1
	s_abs_i32 s64, s16
	v_cvt_f32_u32_e32 v5, s64
	s_abs_i32 s68, s17
	v_cvt_f32_u32_e32 v9, s68
	s_sub_i32 s2, 0, s64
	v_rcp_iflag_f32_e32 v8, v5
	v_mov_b32_e32 v3, s10
	v_rcp_iflag_f32_e32 v9, v9
	s_mul_i32 s0, s38, s27
	v_mul_f32_e32 v8, 0x4f7ffffe, v8
	v_cvt_u32_f32_e32 v8, v8
	v_cndmask_b32_e32 v3, v3, v4, vcc
	v_add_u32_e32 v4, s0, v6
	s_add_i32 s0, s14, -1
	v_mul_lo_u32 v10, s2, v8
	v_mul_hi_u32 v10, v8, v10
	v_add_u32_e32 v26, v8, v10
	v_mul_f32_e32 v8, 0x4f7ffffe, v9
	v_cvt_u32_f32_e32 v8, v8
	s_sub_i32 s2, 0, s68
	v_mul_lo_u32 v7, s26, v7
	s_mul_i32 s11, s20, s0
	v_mul_lo_u32 v9, s2, v8
	s_add_i32 s2, s38, s25
	s_add_i32 s0, s15, -1
	s_mul_i32 s2, s2, s27
	v_mul_lo_u32 v7, v7, s27
	s_mul_i32 s65, s21, s0
	v_ashrrev_i32_e32 v5, 31, v4
	s_mul_i32 s67, s25, s27
	v_mul_hi_u32 v9, v8, v9
	v_add_u32_e32 v30, s2, v6
	v_lshlrev_b32_e32 v7, 2, v7
	v_lshlrev_b32_e32 v6, 2, v6
	s_not_b32 s63, s11
	v_cmp_lt_i32_e32 vcc, v2, v3
	s_not_b32 s66, s65
	v_cmp_gt_i64_e64 s[0:1], s[28:29], v[4:5]
	s_ashr_i32 s69, s16, 31
	v_mov_b32_e32 v27, 0
	s_ashr_i32 s70, s17, 31
	v_add_u32_e32 v28, v8, v9
	v_mul_lo_u32 v29, s22, v4
	s_mul_i32 s22, s67, s22
	v_add3_u32 v31, v7, v6, 0
	s_lshl_b32 s25, s27, 2
	s_mov_b64 s[14:15], 0
                                        ; implicit-def: $vgpr32
                                        ; implicit-def: $vgpr33
                                        ; implicit-def: $vgpr34
                                        ; implicit-def: $vgpr35
	s_branch .LBB19_13
.LBB19_11:                              ;   in Loop: Header=BB19_13 Depth=1
	s_or_b64 exec, exec, s[20:21]
.LBB19_12:                              ;   in Loop: Header=BB19_13 Depth=1
	s_or_b64 exec, exec, s[16:17]
	v_add_u32_e32 v0, s33, v0
	v_cmp_ge_i32_e64 s[2:3], v0, v1
	s_or_b64 s[14:15], s[2:3], s[14:15]
	s_andn2_b64 exec, exec, s[14:15]
	s_cbranch_execz .LBB19_59
.LBB19_13:                              ; =>This Loop Header: Depth=1
                                        ;     Child Loop BB19_19 Depth 2
                                        ;       Child Loop BB19_28 Depth 3
                                        ;         Child Loop BB19_31 Depth 4
                                        ;           Child Loop BB19_34 Depth 5
                                        ;       Child Loop BB19_40 Depth 3
                                        ;       Child Loop BB19_51 Depth 3
	;; [unrolled: 1-line block ×3, first 2 shown]
	v_add_u32_e32 v6, s18, v0
	v_cmp_lt_i32_e64 s[2:3], s11, v6
	v_mov_b32_e32 v36, 0
	s_and_saveexec_b64 s[4:5], s[2:3]
	s_cbranch_execz .LBB19_15
; %bb.14:                               ;   in Loop: Header=BB19_13 Depth=1
	v_add_u32_e32 v7, s63, v6
	v_sub_u32_e32 v9, 0, v7
	v_ashrrev_i32_e32 v8, 31, v7
	v_max_i32_e32 v7, v7, v9
	v_mul_hi_u32 v9, v7, v26
	v_mul_lo_u32 v10, v9, s64
	v_sub_u32_e32 v7, v7, v10
	v_add_u32_e32 v10, 1, v9
	v_cmp_le_u32_e64 s[2:3], s64, v7
	v_xor_b32_e32 v8, s69, v8
	s_nop 0
	v_cndmask_b32_e64 v9, v9, v10, s[2:3]
	v_subrev_u32_e32 v10, s64, v7
	v_cndmask_b32_e64 v7, v7, v10, s[2:3]
	v_add_u32_e32 v10, 1, v9
	v_cmp_le_u32_e64 s[2:3], s64, v7
	s_nop 1
	v_cndmask_b32_e64 v7, v9, v10, s[2:3]
	v_xor_b32_e32 v7, v7, v8
	v_sub_u32_e32 v7, v7, v8
	v_add_u32_e32 v36, 1, v7
.LBB19_15:                              ;   in Loop: Header=BB19_13 Depth=1
	s_or_b64 exec, exec, s[4:5]
	s_and_saveexec_b64 s[16:17], vcc
	s_cbranch_execz .LBB19_12
; %bb.16:                               ;   in Loop: Header=BB19_13 Depth=1
	v_sub_u32_e32 v8, 0, v6
	v_ashrrev_i32_e32 v7, 31, v6
	v_max_i32_e32 v6, v6, v8
	v_mul_hi_u32 v8, v6, v26
	v_mul_lo_u32 v9, v8, s64
	v_sub_u32_e32 v6, v6, v9
	v_add_u32_e32 v9, 1, v8
	v_cmp_le_u32_e64 s[2:3], s64, v6
	v_xor_b32_e32 v7, s69, v7
	v_add_u32_e32 v12, 1, v36
	v_cndmask_b32_e64 v8, v8, v9, s[2:3]
	v_subrev_u32_e32 v9, s64, v6
	v_cndmask_b32_e64 v6, v6, v9, s[2:3]
	v_add_u32_e32 v9, 1, v8
	v_cmp_le_u32_e64 s[2:3], s64, v6
	v_mul_lo_u32 v38, v0, s10
	v_mul_lo_u32 v39, s23, v12
	v_cndmask_b32_e64 v6, v8, v9, s[2:3]
	v_xor_b32_e32 v6, v6, v7
	v_sub_u32_e32 v6, v6, v7
	v_add_u32_e32 v6, 1, v6
	v_min_i32_e32 v37, s12, v6
	v_sub_u32_e32 v6, v37, v36
	v_cmp_gt_i32_e64 s[8:9], 3, v6
	v_mul_lo_u32 v6, v36, s23
	v_cmp_eq_u32_e64 s[6:7], v12, v37
	v_ashrrev_i32_e32 v7, 31, v6
	v_add_u32_e32 v10, s23, v6
	v_cmp_gt_i32_e64 s[2:3], v37, v36
	v_lshl_add_u64 v[8:9], v[6:7], 3, s[34:35]
	v_cmp_lt_i32_e64 s[4:5], v12, v37
	v_ashrrev_i32_e32 v11, 31, v10
	s_mov_b64 s[20:21], 0
	s_xor_b64 s[26:27], s[6:7], -1
	s_xor_b64 s[38:39], s[8:9], -1
	v_mov_b32_e32 v40, v2
	s_branch .LBB19_19
.LBB19_17:                              ;   in Loop: Header=BB19_19 Depth=2
	s_or_b64 exec, exec, s[40:41]
.LBB19_18:                              ;   in Loop: Header=BB19_19 Depth=2
	s_or_b64 exec, exec, s[8:9]
	v_add_u32_e32 v40, s62, v40
	v_cmp_ge_i32_e64 s[6:7], v40, v3
	s_or_b64 s[20:21], s[6:7], s[20:21]
	s_andn2_b64 exec, exec, s[20:21]
	s_cbranch_execz .LBB19_11
.LBB19_19:                              ;   Parent Loop BB19_13 Depth=1
                                        ; =>  This Loop Header: Depth=2
                                        ;       Child Loop BB19_28 Depth 3
                                        ;         Child Loop BB19_31 Depth 4
                                        ;           Child Loop BB19_34 Depth 5
                                        ;       Child Loop BB19_40 Depth 3
                                        ;       Child Loop BB19_51 Depth 3
	;; [unrolled: 1-line block ×3, first 2 shown]
	v_add_u32_e32 v12, s19, v40
	v_cmp_lt_i32_e64 s[6:7], s65, v12
	v_mov_b32_e32 v24, 0
	s_and_saveexec_b64 s[8:9], s[6:7]
	s_cbranch_execz .LBB19_21
; %bb.20:                               ;   in Loop: Header=BB19_19 Depth=2
	v_add_u32_e32 v13, s66, v12
	v_sub_u32_e32 v15, 0, v13
	v_ashrrev_i32_e32 v14, 31, v13
	v_max_i32_e32 v13, v13, v15
	v_mul_hi_u32 v15, v13, v28
	v_mul_lo_u32 v16, v15, s68
	v_sub_u32_e32 v13, v13, v16
	v_add_u32_e32 v16, 1, v15
	v_cmp_le_u32_e64 s[6:7], s68, v13
	v_xor_b32_e32 v14, s70, v14
	s_nop 0
	v_cndmask_b32_e64 v15, v15, v16, s[6:7]
	v_subrev_u32_e32 v16, s68, v13
	v_cndmask_b32_e64 v13, v13, v16, s[6:7]
	v_add_u32_e32 v16, 1, v15
	v_cmp_le_u32_e64 s[6:7], s68, v13
	s_nop 1
	v_cndmask_b32_e64 v13, v15, v16, s[6:7]
	v_xor_b32_e32 v13, v13, v14
	v_sub_u32_e32 v13, v13, v14
	v_add_u32_e32 v24, 1, v13
.LBB19_21:                              ;   in Loop: Header=BB19_19 Depth=2
	s_or_b64 exec, exec, s[8:9]
	v_sub_u32_e32 v14, 0, v12
	v_ashrrev_i32_e32 v13, 31, v12
	v_max_i32_e32 v12, v12, v14
	v_mul_hi_u32 v14, v12, v28
	v_mul_lo_u32 v15, v14, s68
	v_sub_u32_e32 v12, v12, v15
	v_add_u32_e32 v15, 1, v14
	v_cmp_le_u32_e64 s[6:7], s68, v12
	v_xor_b32_e32 v13, s70, v13
	s_nop 0
	v_cndmask_b32_e64 v14, v14, v15, s[6:7]
	v_subrev_u32_e32 v15, s68, v12
	v_cndmask_b32_e64 v12, v12, v15, s[6:7]
	v_add_u32_e32 v15, 1, v14
	v_cmp_le_u32_e64 s[6:7], s68, v12
	s_nop 1
	v_cndmask_b32_e64 v12, v14, v15, s[6:7]
	v_xor_b32_e32 v12, v12, v13
	v_sub_u32_e32 v12, v12, v13
	v_add_u32_e32 v12, 1, v12
	v_min_i32_e32 v25, s13, v12
	v_add_u32_e32 v13, 1, v24
	v_cmp_ne_u32_e64 s[6:7], v13, v25
	v_add_u32_e32 v12, v40, v38
	s_or_b64 s[6:7], s[26:27], s[6:7]
	s_and_saveexec_b64 s[8:9], s[6:7]
	s_xor_b64 s[40:41], exec, s[8:9]
	s_cbranch_execz .LBB19_53
; %bb.22:                               ;   in Loop: Header=BB19_19 Depth=2
	v_sub_u32_e32 v14, v25, v24
	v_cmp_lt_i32_e64 s[6:7], 2, v14
	s_or_b64 s[6:7], s[38:39], s[6:7]
	s_and_saveexec_b64 s[8:9], s[6:7]
	s_xor_b64 s[42:43], exec, s[8:9]
	s_cbranch_execnz .LBB19_25
; %bb.23:                               ;   in Loop: Header=BB19_19 Depth=2
	s_andn2_saveexec_b64 s[42:43], s[42:43]
	s_cbranch_execnz .LBB19_37
.LBB19_24:                              ;   in Loop: Header=BB19_19 Depth=2
	s_or_b64 exec, exec, s[42:43]
	s_and_saveexec_b64 s[8:9], s[0:1]
	s_cbranch_execnz .LBB19_50
	s_branch .LBB19_52
.LBB19_25:                              ;   in Loop: Header=BB19_19 Depth=2
	s_and_saveexec_b64 s[44:45], s[2:3]
	s_cbranch_execz .LBB19_36
; %bb.26:                               ;   in Loop: Header=BB19_19 Depth=2
	v_mad_u64_u32 v[14:15], s[8:9], s24, v24, v[6:7]
	v_cmp_gt_i32_e64 s[6:7], v25, v24
	v_ashrrev_i32_e32 v13, 31, v12
	s_mov_b64 s[46:47], 0
	v_mov_b32_e32 v15, v36
	s_branch .LBB19_28
.LBB19_27:                              ;   in Loop: Header=BB19_28 Depth=3
	s_or_b64 exec, exec, s[48:49]
	v_add_u32_e32 v15, 1, v15
	v_cmp_ge_i32_e64 s[8:9], v15, v37
	s_or_b64 s[46:47], s[8:9], s[46:47]
	v_add_u32_e32 v14, s23, v14
	s_andn2_b64 exec, exec, s[46:47]
	s_cbranch_execz .LBB19_36
.LBB19_28:                              ;   Parent Loop BB19_13 Depth=1
                                        ;     Parent Loop BB19_19 Depth=2
                                        ; =>    This Loop Header: Depth=3
                                        ;         Child Loop BB19_31 Depth 4
                                        ;           Child Loop BB19_34 Depth 5
	s_and_saveexec_b64 s[48:49], s[6:7]
	s_cbranch_execz .LBB19_27
; %bb.29:                               ;   in Loop: Header=BB19_28 Depth=3
	v_mul_lo_u32 v16, v15, s23
	v_ashrrev_i32_e32 v17, 31, v16
	v_lshl_add_u64 v[16:17], v[16:17], 3, s[34:35]
	s_mov_b64 s[50:51], 0
	v_mov_b32_e32 v41, v14
	v_mov_b32_e32 v42, v24
	s_branch .LBB19_31
.LBB19_30:                              ;   in Loop: Header=BB19_31 Depth=4
	s_or_b64 exec, exec, s[52:53]
	v_add_u32_e32 v42, 1, v42
	v_cmp_ge_i32_e64 s[8:9], v42, v25
	s_or_b64 s[50:51], s[8:9], s[50:51]
	v_add_u32_e32 v41, s24, v41
	s_andn2_b64 exec, exec, s[50:51]
	s_cbranch_execz .LBB19_27
.LBB19_31:                              ;   Parent Loop BB19_13 Depth=1
                                        ;     Parent Loop BB19_19 Depth=2
                                        ;       Parent Loop BB19_28 Depth=3
                                        ; =>      This Loop Header: Depth=4
                                        ;           Child Loop BB19_34 Depth 5
	s_and_saveexec_b64 s[52:53], s[0:1]
	s_cbranch_execz .LBB19_30
; %bb.32:                               ;   in Loop: Header=BB19_31 Depth=4
	v_mul_lo_u32 v18, v42, s24
	v_ashrrev_i32_e32 v19, 31, v18
	v_lshl_add_u64 v[18:19], v[18:19], 3, v[16:17]
	s_mov_b64 s[54:55], 0
	v_mov_b32_e32 v43, v31
	v_mov_b32_e32 v20, v30
	;; [unrolled: 1-line block ×3, first 2 shown]
	s_branch .LBB19_34
.LBB19_33:                              ;   in Loop: Header=BB19_34 Depth=5
	s_or_b64 exec, exec, s[56:57]
	v_ashrrev_i32_e32 v21, 31, v20
	v_cmp_le_i64_e64 s[8:9], s[28:29], v[20:21]
	v_add_u32_e32 v22, s22, v22
	v_add_u32_e32 v20, s67, v20
	s_or_b64 s[54:55], s[8:9], s[54:55]
	v_add_u32_e32 v43, s25, v43
	s_andn2_b64 exec, exec, s[54:55]
	s_cbranch_execz .LBB19_30
.LBB19_34:                              ;   Parent Loop BB19_13 Depth=1
                                        ;     Parent Loop BB19_19 Depth=2
                                        ;       Parent Loop BB19_28 Depth=3
                                        ;         Parent Loop BB19_31 Depth=4
                                        ; =>        This Inner Loop Header: Depth=5
	v_ashrrev_i32_e32 v23, 31, v22
	v_lshl_add_u64 v[44:45], v[22:23], 3, v[18:19]
	global_load_dwordx2 v[44:45], v[44:45], off
	s_waitcnt vmcnt(0)
	v_cmp_eq_u64_e64 s[8:9], v[44:45], v[12:13]
	s_and_saveexec_b64 s[56:57], s[8:9]
	s_cbranch_execz .LBB19_33
; %bb.35:                               ;   in Loop: Header=BB19_34 Depth=5
	v_add_u32_e32 v44, v41, v22
	v_ashrrev_i32_e32 v45, 31, v44
	v_lshl_add_u64 v[44:45], v[44:45], 2, s[36:37]
	global_load_dword v21, v[44:45], off
	ds_read_b32 v23, v43
	s_waitcnt vmcnt(0) lgkmcnt(0)
	v_add_f32_e32 v21, v21, v23
	ds_write_b32 v43, v21
	s_branch .LBB19_33
.LBB19_36:                              ;   in Loop: Header=BB19_19 Depth=2
	s_or_b64 exec, exec, s[44:45]
                                        ; implicit-def: $vgpr25
                                        ; implicit-def: $vgpr24
                                        ; implicit-def: $vgpr13
	s_andn2_saveexec_b64 s[42:43], s[42:43]
	s_cbranch_execz .LBB19_24
.LBB19_37:                              ;   in Loop: Header=BB19_19 Depth=2
	s_and_saveexec_b64 s[44:45], s[0:1]
	s_cbranch_execz .LBB19_49
; %bb.38:                               ;   in Loop: Header=BB19_19 Depth=2
	v_mul_lo_u32 v14, v24, s24
	v_cmp_gt_i32_e64 s[6:7], v25, v24
	v_cmp_lt_i32_e64 s[8:9], v13, v25
	v_add_u32_e32 v16, s24, v14
	s_and_b64 s[46:47], s[2:3], s[6:7]
	v_ashrrev_i32_e32 v15, 31, v14
	s_and_b64 s[48:49], s[2:3], s[8:9]
	v_ashrrev_i32_e32 v17, 31, v16
	s_and_b64 s[50:51], s[4:5], s[6:7]
	s_and_b64 s[8:9], s[4:5], s[8:9]
	v_add_u32_e32 v13, v39, v16
	v_add_u32_e32 v41, v39, v14
	;; [unrolled: 1-line block ×4, first 2 shown]
	s_mov_b64 s[52:53], 0
	v_mov_b32_e32 v44, v31
	v_mov_b32_e32 v18, v30
	;; [unrolled: 1-line block ×3, first 2 shown]
	s_branch .LBB19_40
.LBB19_39:                              ;   in Loop: Header=BB19_40 Depth=3
	s_or_b64 exec, exec, s[60:61]
	s_waitcnt vmcnt(0)
	v_add_f32_e32 v19, 0, v35
	v_cndmask_b32_e64 v19, 0, v19, s[54:55]
	v_add_f32_e32 v21, v19, v34
	v_cndmask_b32_e64 v19, v19, v21, s[58:59]
	ds_read_b32 v21, v44
	v_add_f32_e32 v22, v19, v33
	v_cndmask_b32_e64 v19, v19, v22, s[56:57]
	v_add_f32_e32 v22, v19, v32
	v_cndmask_b32_e64 v19, v19, v22, s[6:7]
	s_waitcnt lgkmcnt(0)
	v_add_f32_e32 v19, v19, v21
	ds_write_b32 v44, v19
	v_ashrrev_i32_e32 v19, 31, v18
	v_cmp_le_i64_e64 s[6:7], s[28:29], v[18:19]
	v_add_u32_e32 v20, s22, v20
	v_add_u32_e32 v18, s67, v18
	s_or_b64 s[52:53], s[6:7], s[52:53]
	v_add_u32_e32 v44, s25, v44
	s_andn2_b64 exec, exec, s[52:53]
	s_cbranch_execz .LBB19_48
.LBB19_40:                              ;   Parent Loop BB19_13 Depth=1
                                        ;     Parent Loop BB19_19 Depth=2
                                        ; =>    This Inner Loop Header: Depth=3
	v_ashrrev_i32_e32 v21, 31, v20
	v_lshl_add_u64 v[22:23], v[20:21], 3, s[34:35]
	v_lshl_add_u64 v[24:25], v[6:7], 3, v[22:23]
	s_mov_b64 s[54:55], 0
	s_and_saveexec_b64 s[56:57], s[46:47]
	s_cbranch_execz .LBB19_42
; %bb.41:                               ;   in Loop: Header=BB19_40 Depth=3
	v_lshl_add_u64 v[46:47], v[14:15], 3, v[24:25]
	global_load_dword v19, v[46:47], off
	v_add_u32_e32 v46, v43, v20
	v_ashrrev_i32_e32 v47, 31, v46
	v_lshl_add_u64 v[46:47], v[46:47], 2, s[36:37]
	global_load_dword v35, v[46:47], off
	s_waitcnt vmcnt(1)
	v_cmp_eq_u32_e64 s[6:7], v12, v19
	s_and_b64 s[54:55], s[6:7], exec
.LBB19_42:                              ;   in Loop: Header=BB19_40 Depth=3
	s_or_b64 exec, exec, s[56:57]
	s_mov_b64 s[56:57], 0
	s_mov_b64 s[58:59], 0
	s_and_saveexec_b64 s[60:61], s[48:49]
	s_cbranch_execnz .LBB19_45
; %bb.43:                               ;   in Loop: Header=BB19_40 Depth=3
	s_or_b64 exec, exec, s[60:61]
	v_lshl_add_u64 v[22:23], v[10:11], 3, v[22:23]
	s_and_saveexec_b64 s[60:61], s[50:51]
	s_cbranch_execnz .LBB19_46
.LBB19_44:                              ;   in Loop: Header=BB19_40 Depth=3
	s_or_b64 exec, exec, s[60:61]
	s_mov_b64 s[6:7], 0
	s_and_saveexec_b64 s[60:61], s[8:9]
	s_cbranch_execz .LBB19_39
	s_branch .LBB19_47
.LBB19_45:                              ;   in Loop: Header=BB19_40 Depth=3
	v_lshl_add_u64 v[24:25], v[16:17], 3, v[24:25]
	global_load_dword v19, v[24:25], off
	v_add_u32_e32 v24, v42, v20
	v_ashrrev_i32_e32 v25, 31, v24
	v_lshl_add_u64 v[24:25], v[24:25], 2, s[36:37]
	global_load_dword v34, v[24:25], off
	s_waitcnt vmcnt(1)
	v_cmp_eq_u32_e64 s[6:7], v12, v19
	s_and_b64 s[58:59], s[6:7], exec
	s_or_b64 exec, exec, s[60:61]
	v_lshl_add_u64 v[22:23], v[10:11], 3, v[22:23]
	s_and_saveexec_b64 s[60:61], s[50:51]
	s_cbranch_execz .LBB19_44
.LBB19_46:                              ;   in Loop: Header=BB19_40 Depth=3
	v_lshl_add_u64 v[24:25], v[14:15], 3, v[22:23]
	global_load_dword v19, v[24:25], off
	v_add_u32_e32 v24, v41, v20
	v_ashrrev_i32_e32 v25, 31, v24
	v_lshl_add_u64 v[24:25], v[24:25], 2, s[36:37]
	global_load_dword v33, v[24:25], off
	s_waitcnt vmcnt(1)
	v_cmp_eq_u32_e64 s[6:7], v12, v19
	s_and_b64 s[56:57], s[6:7], exec
	s_or_b64 exec, exec, s[60:61]
	s_mov_b64 s[6:7], 0
	s_and_saveexec_b64 s[60:61], s[8:9]
	s_cbranch_execz .LBB19_39
.LBB19_47:                              ;   in Loop: Header=BB19_40 Depth=3
	v_lshl_add_u64 v[22:23], v[16:17], 3, v[22:23]
	global_load_dword v19, v[22:23], off
	v_add_u32_e32 v22, v13, v20
	v_ashrrev_i32_e32 v23, 31, v22
	v_lshl_add_u64 v[22:23], v[22:23], 2, s[36:37]
	global_load_dword v32, v[22:23], off
	s_waitcnt vmcnt(1)
	v_cmp_eq_u32_e64 s[6:7], v12, v19
	s_and_b64 s[6:7], s[6:7], exec
	s_branch .LBB19_39
.LBB19_48:                              ;   in Loop: Header=BB19_19 Depth=2
	s_or_b64 exec, exec, s[52:53]
.LBB19_49:                              ;   in Loop: Header=BB19_19 Depth=2
	s_or_b64 exec, exec, s[44:45]
	s_or_b64 exec, exec, s[42:43]
	s_and_saveexec_b64 s[8:9], s[0:1]
	s_cbranch_execz .LBB19_52
.LBB19_50:                              ;   in Loop: Header=BB19_19 Depth=2
	v_ashrrev_i32_e32 v13, 31, v12
	v_mul_lo_u32 v14, s29, v12
	v_mul_lo_u32 v15, s28, v13
	v_mad_u64_u32 v[12:13], s[6:7], s28, v12, 0
	v_add3_u32 v13, v13, v15, v14
	v_lshl_add_u64 v[12:13], v[12:13], 2, s[30:31]
	s_mov_b64 s[42:43], 0
	v_mov_b32_e32 v18, v31
	v_mov_b32_e32 v14, v30
	v_mov_b64_e32 v[16:17], v[4:5]
.LBB19_51:                              ;   Parent Loop BB19_13 Depth=1
                                        ;     Parent Loop BB19_19 Depth=2
                                        ; =>    This Inner Loop Header: Depth=3
	ds_read_b32 v19, v18
	v_ashrrev_i32_e32 v15, 31, v14
	v_cmp_le_i64_e64 s[6:7], s[28:29], v[14:15]
	v_lshl_add_u64 v[20:21], v[16:17], 2, v[12:13]
	ds_write_b32 v18, v27
	v_add_u32_e32 v18, s25, v18
	v_mov_b64_e32 v[16:17], v[14:15]
	v_add_u32_e32 v14, s67, v14
	s_or_b64 s[42:43], s[6:7], s[42:43]
	s_waitcnt lgkmcnt(1)
	global_store_dword v[20:21], v19, off
	s_andn2_b64 exec, exec, s[42:43]
	s_cbranch_execnz .LBB19_51
.LBB19_52:                              ;   in Loop: Header=BB19_19 Depth=2
	s_or_b64 exec, exec, s[8:9]
                                        ; implicit-def: $vgpr24
                                        ; implicit-def: $vgpr12
.LBB19_53:                              ;   in Loop: Header=BB19_19 Depth=2
	s_andn2_saveexec_b64 s[8:9], s[40:41]
	s_cbranch_execz .LBB19_18
; %bb.54:                               ;   in Loop: Header=BB19_19 Depth=2
	s_and_saveexec_b64 s[40:41], s[0:1]
	s_cbranch_execz .LBB19_17
; %bb.55:                               ;   in Loop: Header=BB19_19 Depth=2
	v_mul_lo_u32 v18, v24, s24
	v_ashrrev_i32_e32 v19, 31, v18
	v_ashrrev_i32_e32 v13, 31, v12
	v_lshl_add_u64 v[14:15], v[18:19], 3, v[8:9]
	v_mul_lo_u32 v19, s29, v12
	v_mul_lo_u32 v20, s28, v13
	v_mad_u64_u32 v[16:17], s[6:7], s28, v12, 0
	v_add3_u32 v17, v17, v20, v19
	v_lshl_add_u64 v[16:17], v[16:17], 2, s[30:31]
	v_add_u32_e32 v24, v18, v6
	s_mov_b64 s[42:43], 0
	v_mov_b32_e32 v18, v30
	v_mov_b32_e32 v20, v29
	v_mov_b64_e32 v[22:23], v[4:5]
	s_branch .LBB19_57
.LBB19_56:                              ;   in Loop: Header=BB19_57 Depth=3
	s_or_b64 exec, exec, s[44:45]
	v_ashrrev_i32_e32 v19, 31, v18
	v_cmp_le_i64_e64 s[6:7], s[28:29], v[18:19]
	v_mov_b64_e32 v[22:23], v[18:19]
	v_add_u32_e32 v20, s22, v20
	s_or_b64 s[42:43], s[6:7], s[42:43]
	v_add_u32_e32 v18, s67, v18
	s_andn2_b64 exec, exec, s[42:43]
	s_cbranch_execz .LBB19_17
.LBB19_57:                              ;   Parent Loop BB19_13 Depth=1
                                        ;     Parent Loop BB19_19 Depth=2
                                        ; =>    This Inner Loop Header: Depth=3
	v_ashrrev_i32_e32 v21, 31, v20
	v_lshl_add_u64 v[42:43], v[20:21], 3, v[14:15]
	global_load_dwordx2 v[42:43], v[42:43], off
	s_waitcnt vmcnt(0)
	v_cmp_eq_u64_e64 s[6:7], v[42:43], v[12:13]
	s_and_saveexec_b64 s[44:45], s[6:7]
	s_cbranch_execz .LBB19_56
; %bb.58:                               ;   in Loop: Header=BB19_57 Depth=3
	v_add_u32_e32 v42, v24, v20
	v_ashrrev_i32_e32 v43, 31, v42
	v_lshl_add_u64 v[42:43], v[42:43], 2, s[36:37]
	global_load_dword v19, v[42:43], off
	v_lshl_add_u64 v[22:23], v[22:23], 2, v[16:17]
	s_waitcnt vmcnt(0)
	global_store_dword v[22:23], v19, off
	s_branch .LBB19_56
.LBB19_59:
	s_endpgm
.LBB19_60:
                                        ; implicit-def: $sgpr6_sgpr7
	s_andn2_b64 vcc, exec, s[34:35]
	s_cbranch_vccz .LBB19_5
	s_branch .LBB19_6
.LBB19_61:
                                        ; implicit-def: $sgpr36_sgpr37
	s_andn2_b64 vcc, exec, s[34:35]
	s_cbranch_vccz .LBB19_8
	s_branch .LBB19_9
	.section	.rodata,"a",@progbits
	.p2align	6, 0x0
	.amdhsa_kernel _ZN2at6native12_GLOBAL__N_122max_pool_backward_nhwcIffEEvPKT_PKlillliiiiiiiiiiiiiiiPS3_
		.amdhsa_group_segment_fixed_size 0
		.amdhsa_private_segment_fixed_size 0
		.amdhsa_kernarg_size 376
		.amdhsa_user_sgpr_count 2
		.amdhsa_user_sgpr_dispatch_ptr 0
		.amdhsa_user_sgpr_queue_ptr 0
		.amdhsa_user_sgpr_kernarg_segment_ptr 1
		.amdhsa_user_sgpr_dispatch_id 0
		.amdhsa_user_sgpr_kernarg_preload_length 0
		.amdhsa_user_sgpr_kernarg_preload_offset 0
		.amdhsa_user_sgpr_private_segment_size 0
		.amdhsa_uses_dynamic_stack 0
		.amdhsa_enable_private_segment 0
		.amdhsa_system_sgpr_workgroup_id_x 1
		.amdhsa_system_sgpr_workgroup_id_y 1
		.amdhsa_system_sgpr_workgroup_id_z 1
		.amdhsa_system_sgpr_workgroup_info 0
		.amdhsa_system_vgpr_workitem_id 2
		.amdhsa_next_free_vgpr 48
		.amdhsa_next_free_sgpr 71
		.amdhsa_accum_offset 48
		.amdhsa_reserve_vcc 1
		.amdhsa_float_round_mode_32 0
		.amdhsa_float_round_mode_16_64 0
		.amdhsa_float_denorm_mode_32 3
		.amdhsa_float_denorm_mode_16_64 3
		.amdhsa_dx10_clamp 1
		.amdhsa_ieee_mode 1
		.amdhsa_fp16_overflow 0
		.amdhsa_tg_split 0
		.amdhsa_exception_fp_ieee_invalid_op 0
		.amdhsa_exception_fp_denorm_src 0
		.amdhsa_exception_fp_ieee_div_zero 0
		.amdhsa_exception_fp_ieee_overflow 0
		.amdhsa_exception_fp_ieee_underflow 0
		.amdhsa_exception_fp_ieee_inexact 0
		.amdhsa_exception_int_div_zero 0
	.end_amdhsa_kernel
	.section	.text._ZN2at6native12_GLOBAL__N_122max_pool_backward_nhwcIffEEvPKT_PKlillliiiiiiiiiiiiiiiPS3_,"axG",@progbits,_ZN2at6native12_GLOBAL__N_122max_pool_backward_nhwcIffEEvPKT_PKlillliiiiiiiiiiiiiiiPS3_,comdat
.Lfunc_end19:
	.size	_ZN2at6native12_GLOBAL__N_122max_pool_backward_nhwcIffEEvPKT_PKlillliiiiiiiiiiiiiiiPS3_, .Lfunc_end19-_ZN2at6native12_GLOBAL__N_122max_pool_backward_nhwcIffEEvPKT_PKlillliiiiiiiiiiiiiiiPS3_
                                        ; -- End function
	.set _ZN2at6native12_GLOBAL__N_122max_pool_backward_nhwcIffEEvPKT_PKlillliiiiiiiiiiiiiiiPS3_.num_vgpr, 48
	.set _ZN2at6native12_GLOBAL__N_122max_pool_backward_nhwcIffEEvPKT_PKlillliiiiiiiiiiiiiiiPS3_.num_agpr, 0
	.set _ZN2at6native12_GLOBAL__N_122max_pool_backward_nhwcIffEEvPKT_PKlillliiiiiiiiiiiiiiiPS3_.numbered_sgpr, 71
	.set _ZN2at6native12_GLOBAL__N_122max_pool_backward_nhwcIffEEvPKT_PKlillliiiiiiiiiiiiiiiPS3_.num_named_barrier, 0
	.set _ZN2at6native12_GLOBAL__N_122max_pool_backward_nhwcIffEEvPKT_PKlillliiiiiiiiiiiiiiiPS3_.private_seg_size, 0
	.set _ZN2at6native12_GLOBAL__N_122max_pool_backward_nhwcIffEEvPKT_PKlillliiiiiiiiiiiiiiiPS3_.uses_vcc, 1
	.set _ZN2at6native12_GLOBAL__N_122max_pool_backward_nhwcIffEEvPKT_PKlillliiiiiiiiiiiiiiiPS3_.uses_flat_scratch, 0
	.set _ZN2at6native12_GLOBAL__N_122max_pool_backward_nhwcIffEEvPKT_PKlillliiiiiiiiiiiiiiiPS3_.has_dyn_sized_stack, 0
	.set _ZN2at6native12_GLOBAL__N_122max_pool_backward_nhwcIffEEvPKT_PKlillliiiiiiiiiiiiiiiPS3_.has_recursion, 0
	.set _ZN2at6native12_GLOBAL__N_122max_pool_backward_nhwcIffEEvPKT_PKlillliiiiiiiiiiiiiiiPS3_.has_indirect_call, 0
	.section	.AMDGPU.csdata,"",@progbits
; Kernel info:
; codeLenInByte = 4196
; TotalNumSgprs: 77
; NumVgprs: 48
; NumAgprs: 0
; TotalNumVgprs: 48
; ScratchSize: 0
; MemoryBound: 0
; FloatMode: 240
; IeeeMode: 1
; LDSByteSize: 0 bytes/workgroup (compile time only)
; SGPRBlocks: 9
; VGPRBlocks: 5
; NumSGPRsForWavesPerEU: 77
; NumVGPRsForWavesPerEU: 48
; AccumOffset: 48
; Occupancy: 8
; WaveLimiterHint : 0
; COMPUTE_PGM_RSRC2:SCRATCH_EN: 0
; COMPUTE_PGM_RSRC2:USER_SGPR: 2
; COMPUTE_PGM_RSRC2:TRAP_HANDLER: 0
; COMPUTE_PGM_RSRC2:TGID_X_EN: 1
; COMPUTE_PGM_RSRC2:TGID_Y_EN: 1
; COMPUTE_PGM_RSRC2:TGID_Z_EN: 1
; COMPUTE_PGM_RSRC2:TIDIG_COMP_CNT: 2
; COMPUTE_PGM_RSRC3_GFX90A:ACCUM_OFFSET: 11
; COMPUTE_PGM_RSRC3_GFX90A:TG_SPLIT: 0
	.section	.text._ZN2at6native12_GLOBAL__N_122max_pool_backward_nchwIffiEEvPKT_PKlT1_S8_S8_S8_S8_S8_iiiiiiiiPS3_,"axG",@progbits,_ZN2at6native12_GLOBAL__N_122max_pool_backward_nchwIffiEEvPKT_PKlT1_S8_S8_S8_S8_S8_iiiiiiiiPS3_,comdat
	.globl	_ZN2at6native12_GLOBAL__N_122max_pool_backward_nchwIffiEEvPKT_PKlT1_S8_S8_S8_S8_S8_iiiiiiiiPS3_ ; -- Begin function _ZN2at6native12_GLOBAL__N_122max_pool_backward_nchwIffiEEvPKT_PKlT1_S8_S8_S8_S8_S8_iiiiiiiiPS3_
	.p2align	8
	.type	_ZN2at6native12_GLOBAL__N_122max_pool_backward_nchwIffiEEvPKT_PKlT1_S8_S8_S8_S8_S8_iiiiiiiiPS3_,@function
_ZN2at6native12_GLOBAL__N_122max_pool_backward_nchwIffiEEvPKT_PKlT1_S8_S8_S8_S8_S8_iiiiiiiiPS3_: ; @_ZN2at6native12_GLOBAL__N_122max_pool_backward_nchwIffiEEvPKT_PKlT1_S8_S8_S8_S8_S8_iiiiiiiiPS3_
; %bb.0:
	s_load_dword s5, s[0:1], 0x5c
	s_load_dwordx8 s[12:19], s[0:1], 0x10
	s_add_u32 s10, s0, 0x50
	s_addc_u32 s11, s1, 0
	v_mov_b32_e32 v1, 0
	s_waitcnt lgkmcnt(0)
	s_and_b32 s6, s5, 0xffff
	v_mov_b32_e32 v2, s2
	s_mul_i32 s28, s15, s14
	v_mad_u64_u32 v[0:1], s[8:9], s6, v2, v[0:1]
	s_ashr_i32 s29, s28, 31
	v_cmp_gt_i64_e32 vcc, s[28:29], v[0:1]
	s_and_saveexec_b64 s[8:9], vcc
	s_cbranch_execz .LBB20_23
; %bb.1:
	s_load_dwordx8 s[20:27], s[0:1], 0x30
	s_load_dword s7, s[10:11], 0x0
	s_add_i32 s2, s18, -1
	s_add_i32 s5, s19, -1
	s_mul_i32 s53, s17, s16
	s_waitcnt lgkmcnt(0)
	s_mul_i32 s2, s24, s2
	s_mul_i32 s5, s25, s5
	s_not_b32 s14, s2
	s_not_b32 s33, s5
	s_cmp_lt_i32 s3, s12
	s_cselect_b64 s[8:9], -1, 0
	s_cmp_lt_i32 s4, s13
	s_cselect_b64 s[18:19], -1, 0
	s_abs_i32 s46, s15
	v_cvt_f32_u32_e32 v2, s46
	s_abs_i32 s48, s20
	v_cvt_f32_u32_e32 v3, s48
	s_load_dwordx4 s[24:27], s[0:1], 0x0
	s_load_dwordx2 s[30:31], s[0:1], 0x48
	v_rcp_iflag_f32_e32 v2, v2
	s_sub_i32 s0, 0, s46
	s_abs_i32 s49, s21
	v_rcp_iflag_f32_e32 v5, v3
	v_mul_f32_e32 v2, 0x4f7ffffe, v2
	v_cvt_u32_f32_e32 v2, v2
	s_mul_i32 s34, s7, s6
	s_mov_b32 s35, 0
	s_ashr_i32 s47, s15, 31
	v_mul_lo_u32 v4, s0, v2
	v_mul_hi_u32 v4, v2, v4
	v_add_u32_e32 v3, v2, v4
	v_cvt_f32_u32_e32 v2, s49
	v_mul_f32_e32 v4, 0x4f7ffffe, v5
	v_cvt_u32_f32_e32 v4, v4
	s_sub_i32 s0, 0, s48
	v_rcp_iflag_f32_e32 v2, v2
	s_ashr_i32 s50, s20, 31
	v_mul_lo_u32 v5, s0, v4
	v_mul_hi_u32 v5, v4, v5
	v_mul_f32_e32 v2, 0x4f7ffffe, v2
	v_cvt_u32_f32_e32 v2, v2
	s_sub_i32 s0, 0, s49
	v_add_u32_e32 v8, v4, v5
	s_ashr_i32 s51, s21, 31
	v_mul_lo_u32 v4, s0, v2
	v_mul_hi_u32 v4, v2, v4
	s_mul_i32 s0, s3, s13
	v_add_u32_e32 v9, v2, v4
	s_add_i32 s0, s4, s0
	v_cndmask_b32_e64 v2, 0, 1, s[8:9]
	s_mul_i32 s52, s16, s0
	s_mul_i32 s54, s53, s13
	s_mov_b64 s[20:21], 0
	v_cmp_ne_u32_e64 s[0:1], 1, v2
	s_branch .LBB20_3
.LBB20_2:                               ;   in Loop: Header=BB20_3 Depth=1
	v_lshl_add_u64 v[0:1], v[0:1], 0, s[34:35]
	v_cmp_le_i64_e32 vcc, s[28:29], v[0:1]
	s_or_b64 s[20:21], vcc, s[20:21]
	s_andn2_b64 exec, exec, s[20:21]
	s_cbranch_execz .LBB20_23
.LBB20_3:                               ; =>This Loop Header: Depth=1
                                        ;     Child Loop BB20_10 Depth 2
                                        ;       Child Loop BB20_14 Depth 3
                                        ;         Child Loop BB20_18 Depth 4
                                        ;           Child Loop BB20_21 Depth 5
	v_sub_u32_e32 v5, 0, v0
	v_max_i32_e32 v5, v0, v5
	v_mul_hi_u32 v6, v5, v3
	v_mul_lo_u32 v7, v6, s46
	v_sub_u32_e32 v5, v5, v7
	v_add_u32_e32 v7, 1, v6
	v_cmp_le_u32_e32 vcc, s46, v5
	v_ashrrev_i32_e32 v2, 31, v0
	v_xor_b32_e32 v4, s47, v2
	v_cndmask_b32_e32 v6, v6, v7, vcc
	v_subrev_u32_e32 v7, s46, v5
	v_cndmask_b32_e32 v5, v5, v7, vcc
	v_add_u32_e32 v7, 1, v6
	v_cmp_le_u32_e32 vcc, s46, v5
	v_mov_b32_e32 v2, 0
	v_mov_b32_e32 v10, 0
	v_cndmask_b32_e32 v5, v6, v7, vcc
	v_xor_b32_e32 v5, v5, v4
	v_sub_u32_e32 v5, v5, v4
	v_add_u32_e32 v4, s22, v5
	v_cmp_lt_i32_e32 vcc, s2, v4
	s_and_saveexec_b64 s[6:7], vcc
	s_cbranch_execz .LBB20_5
; %bb.4:                                ;   in Loop: Header=BB20_3 Depth=1
	v_add_u32_e32 v6, s14, v4
	v_sub_u32_e32 v10, 0, v6
	v_ashrrev_i32_e32 v7, 31, v6
	v_max_i32_e32 v6, v6, v10
	v_mul_hi_u32 v10, v6, v8
	v_mul_lo_u32 v11, v10, s48
	v_sub_u32_e32 v6, v6, v11
	v_add_u32_e32 v11, 1, v10
	v_cmp_le_u32_e32 vcc, s48, v6
	v_xor_b32_e32 v7, s50, v7
	s_nop 0
	v_cndmask_b32_e32 v10, v10, v11, vcc
	v_subrev_u32_e32 v11, s48, v6
	v_cndmask_b32_e32 v6, v6, v11, vcc
	v_add_u32_e32 v11, 1, v10
	v_cmp_le_u32_e32 vcc, s48, v6
	s_nop 1
	v_cndmask_b32_e32 v6, v10, v11, vcc
	v_xor_b32_e32 v6, v6, v7
	v_sub_u32_e32 v6, v6, v7
	v_add_u32_e32 v10, 1, v6
.LBB20_5:                               ;   in Loop: Header=BB20_3 Depth=1
	s_or_b64 exec, exec, s[6:7]
	v_mul_lo_u32 v5, v5, s15
	v_sub_u32_e32 v5, v0, v5
	v_add_u32_e32 v5, s23, v5
	v_cmp_lt_i32_e32 vcc, s5, v5
	s_and_saveexec_b64 s[6:7], vcc
	s_cbranch_execz .LBB20_7
; %bb.6:                                ;   in Loop: Header=BB20_3 Depth=1
	v_add_u32_e32 v2, s33, v5
	v_sub_u32_e32 v7, 0, v2
	v_ashrrev_i32_e32 v6, 31, v2
	v_max_i32_e32 v2, v2, v7
	v_mul_hi_u32 v7, v2, v9
	v_mul_lo_u32 v11, v7, s49
	v_sub_u32_e32 v2, v2, v11
	v_add_u32_e32 v11, 1, v7
	v_cmp_le_u32_e32 vcc, s49, v2
	v_xor_b32_e32 v6, s51, v6
	s_nop 0
	v_cndmask_b32_e32 v7, v7, v11, vcc
	v_subrev_u32_e32 v11, s49, v2
	v_cndmask_b32_e32 v2, v2, v11, vcc
	v_add_u32_e32 v11, 1, v7
	v_cmp_le_u32_e32 vcc, s49, v2
	s_nop 1
	v_cndmask_b32_e32 v2, v7, v11, vcc
	v_xor_b32_e32 v2, v2, v6
	v_sub_u32_e32 v2, v2, v6
	v_add_u32_e32 v2, 1, v2
.LBB20_7:                               ;   in Loop: Header=BB20_3 Depth=1
	s_or_b64 exec, exec, s[6:7]
	s_and_b64 vcc, exec, s[0:1]
	s_cbranch_vccnz .LBB20_2
; %bb.8:                                ;   in Loop: Header=BB20_3 Depth=1
	v_sub_u32_e32 v7, 0, v5
	v_ashrrev_i32_e32 v6, 31, v5
	v_max_i32_e32 v5, v5, v7
	v_mul_hi_u32 v7, v5, v9
	v_mul_lo_u32 v11, v7, s49
	v_sub_u32_e32 v5, v5, v11
	v_add_u32_e32 v11, 1, v7
	v_cmp_le_u32_e32 vcc, s49, v5
	v_xor_b32_e32 v6, s51, v6
	s_load_dword s55, s[10:11], 0x4
	v_cndmask_b32_e32 v7, v7, v11, vcc
	v_subrev_u32_e32 v11, s49, v5
	v_cndmask_b32_e32 v5, v5, v11, vcc
	v_add_u32_e32 v11, 1, v7
	v_cmp_le_u32_e32 vcc, s49, v5
	s_waitcnt lgkmcnt(0)
	s_mul_i32 s56, s54, s55
	s_mov_b32 s57, s3
	v_cndmask_b32_e32 v5, v7, v11, vcc
	v_xor_b32_e32 v5, v5, v6
	v_sub_u32_e32 v5, v5, v6
	v_add_u32_e32 v5, 1, v5
	v_sub_u32_e32 v6, 0, v4
	v_min_i32_e32 v11, s17, v5
	v_ashrrev_i32_e32 v5, 31, v4
	v_max_i32_e32 v4, v4, v6
	v_mul_hi_u32 v6, v4, v8
	v_mul_lo_u32 v7, v6, s48
	v_sub_u32_e32 v4, v4, v7
	v_add_u32_e32 v7, 1, v6
	v_cmp_le_u32_e32 vcc, s48, v4
	v_xor_b32_e32 v5, s50, v5
	v_cmp_lt_i32_e64 s[6:7], v2, v11
	v_cndmask_b32_e32 v6, v6, v7, vcc
	v_subrev_u32_e32 v7, s48, v4
	v_cndmask_b32_e32 v4, v4, v7, vcc
	v_add_u32_e32 v7, 1, v6
	v_cmp_le_u32_e32 vcc, s48, v4
	s_nop 1
	v_cndmask_b32_e32 v4, v6, v7, vcc
	v_xor_b32_e32 v4, v4, v5
	v_sub_u32_e32 v4, v4, v5
	v_add_u32_e32 v4, 1, v4
	v_min_i32_e32 v12, s16, v4
	v_add_u32_e32 v4, s52, v10
	v_cmp_lt_i32_e64 s[8:9], v10, v12
	v_mad_u64_u32 v[4:5], s[36:37], s17, v4, v[2:3]
	s_branch .LBB20_10
.LBB20_9:                               ;   in Loop: Header=BB20_10 Depth=2
	s_add_i32 s57, s55, s57
	s_cmp_ge_i32 s57, s12
	v_add_u32_e32 v4, s56, v4
	s_cbranch_scc1 .LBB20_2
.LBB20_10:                              ;   Parent Loop BB20_3 Depth=1
                                        ; =>  This Loop Header: Depth=2
                                        ;       Child Loop BB20_14 Depth 3
                                        ;         Child Loop BB20_18 Depth 4
                                        ;           Child Loop BB20_21 Depth 5
	s_andn2_b64 vcc, exec, s[18:19]
	s_cbranch_vccnz .LBB20_9
; %bb.11:                               ;   in Loop: Header=BB20_10 Depth=2
	s_load_dword s58, s[10:11], 0x8
	s_mul_i32 s59, s57, s13
	v_mov_b32_e32 v5, v4
	s_mov_b32 s61, s4
	s_waitcnt lgkmcnt(0)
	s_mul_i32 s60, s53, s58
	s_branch .LBB20_14
.LBB20_12:                              ;   in Loop: Header=BB20_14 Depth=3
	s_or_b64 exec, exec, s[38:39]
.LBB20_13:                              ;   in Loop: Header=BB20_14 Depth=3
	s_or_b64 exec, exec, s[36:37]
	s_add_i32 s36, s61, s59
	s_mul_i32 s36, s28, s36
	v_add_u32_e32 v6, s36, v0
	v_ashrrev_i32_e32 v7, 31, v6
	s_add_i32 s61, s58, s61
	v_lshl_add_u64 v[6:7], v[6:7], 2, s[30:31]
	s_cmp_ge_i32 s61, s13
	v_add_u32_e32 v5, s60, v5
	global_store_dword v[6:7], v13, off
	s_cbranch_scc1 .LBB20_9
.LBB20_14:                              ;   Parent Loop BB20_3 Depth=1
                                        ;     Parent Loop BB20_10 Depth=2
                                        ; =>    This Loop Header: Depth=3
                                        ;         Child Loop BB20_18 Depth 4
                                        ;           Child Loop BB20_21 Depth 5
	v_mov_b32_e32 v13, 0
	s_and_saveexec_b64 s[36:37], s[8:9]
	s_cbranch_execz .LBB20_13
; %bb.15:                               ;   in Loop: Header=BB20_14 Depth=3
	v_mov_b32_e32 v13, 0
	s_mov_b64 s[38:39], 0
	v_mov_b32_e32 v14, v5
	v_mov_b32_e32 v15, v10
	s_branch .LBB20_18
.LBB20_16:                              ;   in Loop: Header=BB20_18 Depth=4
	s_or_b64 exec, exec, s[42:43]
.LBB20_17:                              ;   in Loop: Header=BB20_18 Depth=4
	s_or_b64 exec, exec, s[40:41]
	v_add_u32_e32 v15, 1, v15
	v_cmp_ge_i32_e32 vcc, v15, v12
	s_or_b64 s[38:39], vcc, s[38:39]
	v_add_u32_e32 v14, s17, v14
	s_andn2_b64 exec, exec, s[38:39]
	s_cbranch_execz .LBB20_12
.LBB20_18:                              ;   Parent Loop BB20_3 Depth=1
                                        ;     Parent Loop BB20_10 Depth=2
                                        ;       Parent Loop BB20_14 Depth=3
                                        ; =>      This Loop Header: Depth=4
                                        ;           Child Loop BB20_21 Depth 5
	s_and_saveexec_b64 s[40:41], s[6:7]
	s_cbranch_execz .LBB20_17
; %bb.19:                               ;   in Loop: Header=BB20_18 Depth=4
	s_mov_b64 s[42:43], 0
	v_mov_b32_e32 v6, v14
	v_mov_b32_e32 v16, v2
	s_branch .LBB20_21
.LBB20_20:                              ;   in Loop: Header=BB20_21 Depth=5
	s_or_b64 exec, exec, s[44:45]
	v_add_u32_e32 v16, 1, v16
	v_cmp_ge_i32_e32 vcc, v16, v11
	s_or_b64 s[42:43], vcc, s[42:43]
	v_add_u32_e32 v6, 1, v6
	s_andn2_b64 exec, exec, s[42:43]
	s_cbranch_execz .LBB20_16
.LBB20_21:                              ;   Parent Loop BB20_3 Depth=1
                                        ;     Parent Loop BB20_10 Depth=2
                                        ;       Parent Loop BB20_14 Depth=3
                                        ;         Parent Loop BB20_18 Depth=4
                                        ; =>        This Inner Loop Header: Depth=5
	v_ashrrev_i32_e32 v7, 31, v6
	v_lshl_add_u64 v[18:19], v[6:7], 3, s[26:27]
	global_load_dwordx2 v[18:19], v[18:19], off
	s_waitcnt vmcnt(0)
	v_cmp_eq_u64_e32 vcc, v[18:19], v[0:1]
	s_and_saveexec_b64 s[44:45], vcc
	s_cbranch_execz .LBB20_20
; %bb.22:                               ;   in Loop: Header=BB20_21 Depth=5
	v_lshl_add_u64 v[18:19], v[6:7], 2, s[24:25]
	global_load_dword v7, v[18:19], off
	s_waitcnt vmcnt(0)
	v_add_f32_e32 v13, v13, v7
	s_branch .LBB20_20
.LBB20_23:
	s_endpgm
	.section	.rodata,"a",@progbits
	.p2align	6, 0x0
	.amdhsa_kernel _ZN2at6native12_GLOBAL__N_122max_pool_backward_nchwIffiEEvPKT_PKlT1_S8_S8_S8_S8_S8_iiiiiiiiPS3_
		.amdhsa_group_segment_fixed_size 0
		.amdhsa_private_segment_fixed_size 0
		.amdhsa_kernarg_size 336
		.amdhsa_user_sgpr_count 2
		.amdhsa_user_sgpr_dispatch_ptr 0
		.amdhsa_user_sgpr_queue_ptr 0
		.amdhsa_user_sgpr_kernarg_segment_ptr 1
		.amdhsa_user_sgpr_dispatch_id 0
		.amdhsa_user_sgpr_kernarg_preload_length 0
		.amdhsa_user_sgpr_kernarg_preload_offset 0
		.amdhsa_user_sgpr_private_segment_size 0
		.amdhsa_uses_dynamic_stack 0
		.amdhsa_enable_private_segment 0
		.amdhsa_system_sgpr_workgroup_id_x 1
		.amdhsa_system_sgpr_workgroup_id_y 1
		.amdhsa_system_sgpr_workgroup_id_z 1
		.amdhsa_system_sgpr_workgroup_info 0
		.amdhsa_system_vgpr_workitem_id 0
		.amdhsa_next_free_vgpr 20
		.amdhsa_next_free_sgpr 62
		.amdhsa_accum_offset 20
		.amdhsa_reserve_vcc 1
		.amdhsa_float_round_mode_32 0
		.amdhsa_float_round_mode_16_64 0
		.amdhsa_float_denorm_mode_32 3
		.amdhsa_float_denorm_mode_16_64 3
		.amdhsa_dx10_clamp 1
		.amdhsa_ieee_mode 1
		.amdhsa_fp16_overflow 0
		.amdhsa_tg_split 0
		.amdhsa_exception_fp_ieee_invalid_op 0
		.amdhsa_exception_fp_denorm_src 0
		.amdhsa_exception_fp_ieee_div_zero 0
		.amdhsa_exception_fp_ieee_overflow 0
		.amdhsa_exception_fp_ieee_underflow 0
		.amdhsa_exception_fp_ieee_inexact 0
		.amdhsa_exception_int_div_zero 0
	.end_amdhsa_kernel
	.section	.text._ZN2at6native12_GLOBAL__N_122max_pool_backward_nchwIffiEEvPKT_PKlT1_S8_S8_S8_S8_S8_iiiiiiiiPS3_,"axG",@progbits,_ZN2at6native12_GLOBAL__N_122max_pool_backward_nchwIffiEEvPKT_PKlT1_S8_S8_S8_S8_S8_iiiiiiiiPS3_,comdat
.Lfunc_end20:
	.size	_ZN2at6native12_GLOBAL__N_122max_pool_backward_nchwIffiEEvPKT_PKlT1_S8_S8_S8_S8_S8_iiiiiiiiPS3_, .Lfunc_end20-_ZN2at6native12_GLOBAL__N_122max_pool_backward_nchwIffiEEvPKT_PKlT1_S8_S8_S8_S8_S8_iiiiiiiiPS3_
                                        ; -- End function
	.set _ZN2at6native12_GLOBAL__N_122max_pool_backward_nchwIffiEEvPKT_PKlT1_S8_S8_S8_S8_S8_iiiiiiiiPS3_.num_vgpr, 20
	.set _ZN2at6native12_GLOBAL__N_122max_pool_backward_nchwIffiEEvPKT_PKlT1_S8_S8_S8_S8_S8_iiiiiiiiPS3_.num_agpr, 0
	.set _ZN2at6native12_GLOBAL__N_122max_pool_backward_nchwIffiEEvPKT_PKlT1_S8_S8_S8_S8_S8_iiiiiiiiPS3_.numbered_sgpr, 62
	.set _ZN2at6native12_GLOBAL__N_122max_pool_backward_nchwIffiEEvPKT_PKlT1_S8_S8_S8_S8_S8_iiiiiiiiPS3_.num_named_barrier, 0
	.set _ZN2at6native12_GLOBAL__N_122max_pool_backward_nchwIffiEEvPKT_PKlT1_S8_S8_S8_S8_S8_iiiiiiiiPS3_.private_seg_size, 0
	.set _ZN2at6native12_GLOBAL__N_122max_pool_backward_nchwIffiEEvPKT_PKlT1_S8_S8_S8_S8_S8_iiiiiiiiPS3_.uses_vcc, 1
	.set _ZN2at6native12_GLOBAL__N_122max_pool_backward_nchwIffiEEvPKT_PKlT1_S8_S8_S8_S8_S8_iiiiiiiiPS3_.uses_flat_scratch, 0
	.set _ZN2at6native12_GLOBAL__N_122max_pool_backward_nchwIffiEEvPKT_PKlT1_S8_S8_S8_S8_S8_iiiiiiiiPS3_.has_dyn_sized_stack, 0
	.set _ZN2at6native12_GLOBAL__N_122max_pool_backward_nchwIffiEEvPKT_PKlT1_S8_S8_S8_S8_S8_iiiiiiiiPS3_.has_recursion, 0
	.set _ZN2at6native12_GLOBAL__N_122max_pool_backward_nchwIffiEEvPKT_PKlT1_S8_S8_S8_S8_S8_iiiiiiiiPS3_.has_indirect_call, 0
	.section	.AMDGPU.csdata,"",@progbits
; Kernel info:
; codeLenInByte = 1232
; TotalNumSgprs: 68
; NumVgprs: 20
; NumAgprs: 0
; TotalNumVgprs: 20
; ScratchSize: 0
; MemoryBound: 0
; FloatMode: 240
; IeeeMode: 1
; LDSByteSize: 0 bytes/workgroup (compile time only)
; SGPRBlocks: 8
; VGPRBlocks: 2
; NumSGPRsForWavesPerEU: 68
; NumVGPRsForWavesPerEU: 20
; AccumOffset: 20
; Occupancy: 8
; WaveLimiterHint : 0
; COMPUTE_PGM_RSRC2:SCRATCH_EN: 0
; COMPUTE_PGM_RSRC2:USER_SGPR: 2
; COMPUTE_PGM_RSRC2:TRAP_HANDLER: 0
; COMPUTE_PGM_RSRC2:TGID_X_EN: 1
; COMPUTE_PGM_RSRC2:TGID_Y_EN: 1
; COMPUTE_PGM_RSRC2:TGID_Z_EN: 1
; COMPUTE_PGM_RSRC2:TIDIG_COMP_CNT: 0
; COMPUTE_PGM_RSRC3_GFX90A:ACCUM_OFFSET: 4
; COMPUTE_PGM_RSRC3_GFX90A:TG_SPLIT: 0
	.section	.text._ZN2at6native12_GLOBAL__N_122max_pool_backward_nchwIfflEEvPKT_PKlT1_S8_S8_S8_S8_S8_iiiiiiiiPS3_,"axG",@progbits,_ZN2at6native12_GLOBAL__N_122max_pool_backward_nchwIfflEEvPKT_PKlT1_S8_S8_S8_S8_S8_iiiiiiiiPS3_,comdat
	.globl	_ZN2at6native12_GLOBAL__N_122max_pool_backward_nchwIfflEEvPKT_PKlT1_S8_S8_S8_S8_S8_iiiiiiiiPS3_ ; -- Begin function _ZN2at6native12_GLOBAL__N_122max_pool_backward_nchwIfflEEvPKT_PKlT1_S8_S8_S8_S8_S8_iiiiiiiiPS3_
	.p2align	8
	.type	_ZN2at6native12_GLOBAL__N_122max_pool_backward_nchwIfflEEvPKT_PKlT1_S8_S8_S8_S8_S8_iiiiiiiiPS3_,@function
_ZN2at6native12_GLOBAL__N_122max_pool_backward_nchwIfflEEvPKT_PKlT1_S8_S8_S8_S8_S8_iiiiiiiiPS3_: ; @_ZN2at6native12_GLOBAL__N_122max_pool_backward_nchwIfflEEvPKT_PKlT1_S8_S8_S8_S8_S8_iiiiiiiiPS3_
; %bb.0:
	s_mov_b32 s10, s3
	s_load_dword s3, s[0:1], 0x74
	s_load_dwordx16 s[12:27], s[0:1], 0x0
	s_add_u32 s28, s0, 0x68
	v_mov_b32_e32 v2, 0
	s_addc_u32 s29, s1, 0
	s_waitcnt lgkmcnt(0)
	s_and_b32 s6, s3, 0xffff
	v_mov_b32_e32 v1, v2
	v_mov_b32_e32 v3, s2
	v_mad_u64_u32 v[0:1], s[2:3], s6, v3, v[0:1]
	s_mul_i32 s2, s22, s21
	s_mul_hi_u32 s3, s22, s20
	s_add_i32 s2, s3, s2
	s_mul_i32 s3, s23, s20
	s_add_i32 s21, s2, s3
	s_mul_i32 s20, s22, s20
	v_cmp_gt_i64_e32 vcc, s[20:21], v[0:1]
	s_and_saveexec_b64 s[2:3], vcc
	s_cbranch_execz .LBB21_43
; %bb.1:
	s_load_dwordx8 s[40:47], s[0:1], 0x40
	s_load_dwordx2 s[30:31], s[0:1], 0x60
	s_load_dword s7, s[28:29], 0x0
	v_cvt_f32_u32_e32 v3, s22
	s_mov_b32 s11, 0
	s_waitcnt lgkmcnt(0)
	s_add_i32 s0, s40, -1
	s_mul_i32 s0, s46, s0
	s_add_i32 s36, s0, 1
	s_add_i32 s0, s41, -1
	s_mul_i32 s0, s47, s0
	s_ashr_i32 s33, s42, 31
	s_mov_b32 s82, s42
	s_add_i32 s38, s0, 1
	s_mul_i32 s42, s7, s6
	s_mul_i32 s6, s19, s10
	s_mul_hi_u32 s7, s18, s10
	s_ashr_i32 s35, s44, 31
	s_ashr_i32 s37, s36, 31
	;; [unrolled: 1-line block ×5, first 2 shown]
	s_add_i32 s7, s7, s6
	s_mul_i32 s6, s18, s10
	s_add_u32 s6, s6, s4
	s_addc_u32 s7, s7, 0
	s_mul_i32 s7, s24, s7
	s_mul_hi_u32 s8, s24, s6
	v_rcp_iflag_f32_e32 v3, v3
	s_add_i32 s7, s8, s7
	s_mul_i32 s8, s25, s6
	s_mov_b32 s34, s44
	s_mov_b32 s40, s45
	s_add_i32 s45, s7, s8
	s_mul_i32 s44, s24, s6
	s_mul_i32 s6, s26, s25
	s_mul_hi_u32 s7, s26, s24
	s_add_i32 s6, s7, s6
	s_mul_i32 s7, s27, s24
	s_add_i32 s7, s6, s7
	s_mul_i32 s6, s26, s24
	v_mul_f32_e32 v3, 0x4f7ffffe, v3
	s_mul_i32 s8, s6, s19
	s_mul_hi_u32 s9, s6, s18
	v_cvt_u32_f32_e32 v34, v3
	v_mov_b64_e32 v[4:5], s[10:11]
	s_mov_b32 s5, s11
	s_add_i32 s8, s9, s8
	s_mul_i32 s9, s7, s18
	v_cmp_gt_i64_e64 s[0:1], s[16:17], v[4:5]
	v_mov_b64_e32 v[4:5], s[4:5]
	s_add_i32 s9, s8, s9
	s_mul_i32 s8, s6, s18
	s_mov_b32 s84, s43
	v_cmp_gt_i64_e64 s[2:3], s[18:19], v[4:5]
	s_mov_b32 s43, s11
	s_lshl_b64 s[46:47], s[8:9], 3
	s_lshl_b64 s[48:49], s[6:7], 3
	;; [unrolled: 1-line block ×6, first 2 shown]
	s_mov_b64 s[58:59], 0
	s_branch .LBB21_3
.LBB21_2:                               ;   in Loop: Header=BB21_3 Depth=1
	v_lshl_add_u64 v[0:1], v[0:1], 0, s[42:43]
	v_cmp_le_i64_e32 vcc, s[20:21], v[0:1]
	s_or_b64 s[58:59], vcc, s[58:59]
	s_andn2_b64 exec, exec, s[58:59]
	s_cbranch_execz .LBB21_43
.LBB21_3:                               ; =>This Loop Header: Depth=1
                                        ;     Child Loop BB21_30 Depth 2
                                        ;       Child Loop BB21_34 Depth 3
                                        ;         Child Loop BB21_38 Depth 4
                                        ;           Child Loop BB21_41 Depth 5
	v_or_b32_e32 v3, s23, v1
	v_cmp_ne_u64_e32 vcc, 0, v[2:3]
                                        ; implicit-def: $vgpr8_vgpr9
	s_and_saveexec_b64 s[6:7], vcc
	s_xor_b64 s[8:9], exec, s[6:7]
	s_cbranch_execz .LBB21_5
; %bb.4:                                ;   in Loop: Header=BB21_3 Depth=1
	s_ashr_i32 s60, s23, 31
	s_add_u32 s6, s22, s60
	s_mov_b32 s61, s60
	s_addc_u32 s7, s23, s60
	s_xor_b64 s[62:63], s[6:7], s[60:61]
	v_cvt_f32_u32_e32 v3, s62
	v_cvt_f32_u32_e32 v4, s63
	s_sub_u32 s61, 0, s62
	s_subb_u32 s64, 0, s63
	v_mov_b32_e32 v9, v2
	v_fmac_f32_e32 v3, 0x4f800000, v4
	v_rcp_f32_e32 v3, v3
	s_nop 0
	v_mul_f32_e32 v3, 0x5f7ffffc, v3
	v_mul_f32_e32 v4, 0x2f800000, v3
	v_trunc_f32_e32 v4, v4
	v_fmac_f32_e32 v3, 0xcf800000, v4
	v_cvt_u32_f32_e32 v4, v4
	v_cvt_u32_f32_e32 v3, v3
	v_readfirstlane_b32 s65, v4
	v_readfirstlane_b32 s6, v3
	s_mul_i32 s7, s61, s65
	s_mul_hi_u32 s67, s61, s6
	s_mul_i32 s66, s64, s6
	s_add_i32 s7, s67, s7
	s_add_i32 s7, s7, s66
	s_mul_i32 s68, s61, s6
	s_mul_i32 s67, s6, s7
	s_mul_hi_u32 s69, s6, s68
	s_mul_hi_u32 s66, s6, s7
	s_add_u32 s67, s69, s67
	s_addc_u32 s66, 0, s66
	s_mul_hi_u32 s70, s65, s68
	s_mul_i32 s68, s65, s68
	s_add_u32 s67, s67, s68
	s_mul_hi_u32 s69, s65, s7
	s_addc_u32 s66, s66, s70
	s_addc_u32 s67, s69, 0
	s_mul_i32 s7, s65, s7
	s_add_u32 s7, s66, s7
	s_addc_u32 s66, 0, s67
	s_add_u32 s67, s6, s7
	s_cselect_b64 s[6:7], -1, 0
	s_cmp_lg_u64 s[6:7], 0
	s_addc_u32 s65, s65, s66
	s_mul_i32 s6, s61, s65
	s_mul_hi_u32 s7, s61, s67
	s_add_i32 s6, s7, s6
	s_mul_i32 s64, s64, s67
	s_add_i32 s6, s6, s64
	s_mul_i32 s61, s61, s67
	s_mul_hi_u32 s64, s65, s61
	s_mul_i32 s66, s65, s61
	s_mul_i32 s69, s67, s6
	s_mul_hi_u32 s61, s67, s61
	s_mul_hi_u32 s68, s67, s6
	s_add_u32 s61, s61, s69
	s_addc_u32 s68, 0, s68
	s_add_u32 s61, s61, s66
	s_mul_hi_u32 s7, s65, s6
	s_addc_u32 s61, s68, s64
	s_addc_u32 s7, s7, 0
	s_mul_i32 s6, s65, s6
	s_add_u32 s6, s61, s6
	s_addc_u32 s61, 0, s7
	s_add_u32 s64, s67, s6
	v_ashrrev_i32_e32 v4, 31, v1
	s_cselect_b64 s[6:7], -1, 0
	v_mov_b32_e32 v5, v4
	s_cmp_lg_u64 s[6:7], 0
	v_lshl_add_u64 v[6:7], v[0:1], 0, v[4:5]
	s_addc_u32 s61, s65, s61
	v_xor_b32_e32 v5, v6, v4
	v_xor_b32_e32 v3, v7, v4
	v_mad_u64_u32 v[6:7], s[6:7], v5, s61, 0
	v_mul_hi_u32 v8, v5, s64
	v_lshl_add_u64 v[6:7], v[8:9], 0, v[6:7]
	v_mad_u64_u32 v[10:11], s[6:7], v3, s64, 0
	v_add_co_u32_e32 v6, vcc, v6, v10
	v_mad_u64_u32 v[8:9], s[6:7], v3, s61, 0
	s_nop 0
	v_addc_co_u32_e32 v6, vcc, v7, v11, vcc
	v_mov_b32_e32 v7, v2
	s_nop 0
	v_addc_co_u32_e32 v9, vcc, 0, v9, vcc
	v_lshl_add_u64 v[6:7], v[6:7], 0, v[8:9]
	v_mul_lo_u32 v10, s63, v6
	v_mul_lo_u32 v11, s62, v7
	v_mad_u64_u32 v[8:9], s[6:7], s62, v6, 0
	v_add3_u32 v12, v9, v11, v10
	v_sub_u32_e32 v9, v3, v12
	v_mov_b32_e32 v10, s63
	v_sub_co_u32_e32 v5, vcc, v5, v8
	v_xor_b32_e32 v4, s60, v4
	s_nop 0
	v_subb_co_u32_e64 v8, s[6:7], v9, v10, vcc
	v_subrev_co_u32_e64 v9, s[6:7], s62, v5
	v_subb_co_u32_e32 v3, vcc, v3, v12, vcc
	s_nop 0
	v_subbrev_co_u32_e64 v8, s[6:7], 0, v8, s[6:7]
	v_cmp_le_u32_e64 s[6:7], s63, v8
	v_cmp_le_u32_e32 vcc, s63, v3
	s_nop 0
	v_cndmask_b32_e64 v10, 0, -1, s[6:7]
	v_cmp_le_u32_e64 s[6:7], s62, v9
	s_nop 1
	v_cndmask_b32_e64 v9, 0, -1, s[6:7]
	v_cmp_eq_u32_e64 s[6:7], s63, v8
	s_nop 1
	v_cndmask_b32_e64 v13, v10, v9, s[6:7]
	v_lshl_add_u64 v[8:9], v[6:7], 0, 2
	v_lshl_add_u64 v[10:11], v[6:7], 0, 1
	v_cmp_ne_u32_e64 s[6:7], 0, v13
	s_nop 1
	v_cndmask_b32_e64 v9, v11, v9, s[6:7]
	v_cndmask_b32_e64 v11, 0, -1, vcc
	v_cmp_le_u32_e32 vcc, s62, v5
	s_nop 1
	v_cndmask_b32_e64 v5, 0, -1, vcc
	v_cmp_eq_u32_e32 vcc, s63, v3
	s_nop 1
	v_cndmask_b32_e32 v3, v11, v5, vcc
	v_cmp_ne_u32_e32 vcc, 0, v3
	v_cndmask_b32_e64 v5, v10, v8, s[6:7]
	s_nop 0
	v_cndmask_b32_e32 v5, v6, v5, vcc
	v_cndmask_b32_e32 v3, v7, v9, vcc
	v_xor_b32_e32 v5, v5, v4
	v_xor_b32_e32 v3, v3, v4
	v_sub_co_u32_e32 v8, vcc, v5, v4
	s_nop 1
	v_subb_co_u32_e32 v9, vcc, v3, v4, vcc
.LBB21_5:                               ;   in Loop: Header=BB21_3 Depth=1
	s_andn2_saveexec_b64 s[6:7], s[8:9]
	s_cbranch_execz .LBB21_7
; %bb.6:                                ;   in Loop: Header=BB21_3 Depth=1
	s_sub_i32 s8, 0, s22
	v_mul_lo_u32 v3, s8, v34
	v_mul_hi_u32 v3, v34, v3
	v_add_u32_e32 v3, v34, v3
	v_mul_hi_u32 v3, v0, v3
	v_mul_lo_u32 v4, v3, s22
	v_sub_u32_e32 v4, v0, v4
	v_subrev_u32_e32 v5, s22, v4
	v_cmp_le_u32_e32 vcc, s22, v4
	v_mov_b32_e32 v9, v2
	s_nop 0
	v_cndmask_b32_e32 v4, v4, v5, vcc
	v_add_u32_e32 v5, 1, v3
	v_cndmask_b32_e32 v3, v3, v5, vcc
	v_add_u32_e32 v5, 1, v3
	v_cmp_le_u32_e32 vcc, s22, v4
	s_nop 1
	v_cndmask_b32_e32 v8, v3, v5, vcc
.LBB21_7:                               ;   in Loop: Header=BB21_3 Depth=1
	s_or_b64 exec, exec, s[6:7]
	v_lshl_add_u64 v[10:11], v[8:9], 0, s[34:35]
	v_cmp_le_i64_e32 vcc, s[36:37], v[10:11]
	v_mov_b64_e32 v[4:5], 0
	s_and_saveexec_b64 s[8:9], vcc
	s_cbranch_execz .LBB21_13
; %bb.8:                                ;   in Loop: Header=BB21_3 Depth=1
	v_mov_b32_e32 v3, s37
	v_subrev_co_u32_e32 v4, vcc, s36, v10
                                        ; implicit-def: $vgpr6_vgpr7
	s_nop 1
	v_subb_co_u32_e32 v5, vcc, v11, v3, vcc
	v_or_b32_e32 v3, s33, v5
	v_cmp_ne_u64_e32 vcc, 0, v[2:3]
	s_and_saveexec_b64 s[6:7], vcc
	s_xor_b64 s[60:61], exec, s[6:7]
	s_cbranch_execz .LBB21_10
; %bb.9:                                ;   in Loop: Header=BB21_3 Depth=1
	s_ashr_i32 s62, s33, 31
	s_add_u32 s6, s82, s62
	s_mov_b32 s63, s62
	s_addc_u32 s7, s33, s62
	s_xor_b64 s[64:65], s[6:7], s[62:63]
	v_cvt_f32_u32_e32 v3, s64
	v_cvt_f32_u32_e32 v6, s65
	s_sub_u32 s63, 0, s64
	s_subb_u32 s66, 0, s65
	v_mov_b32_e32 v13, v2
	v_fmac_f32_e32 v3, 0x4f800000, v6
	v_rcp_f32_e32 v3, v3
	s_nop 0
	v_mul_f32_e32 v3, 0x5f7ffffc, v3
	v_mul_f32_e32 v6, 0x2f800000, v3
	v_trunc_f32_e32 v6, v6
	v_fmac_f32_e32 v3, 0xcf800000, v6
	v_cvt_u32_f32_e32 v6, v6
	v_cvt_u32_f32_e32 v3, v3
	v_readfirstlane_b32 s67, v6
	v_readfirstlane_b32 s6, v3
	s_mul_i32 s7, s63, s67
	s_mul_hi_u32 s69, s63, s6
	s_mul_i32 s68, s66, s6
	s_add_i32 s7, s69, s7
	s_add_i32 s7, s7, s68
	s_mul_i32 s70, s63, s6
	s_mul_i32 s69, s6, s7
	s_mul_hi_u32 s71, s6, s70
	s_mul_hi_u32 s68, s6, s7
	s_add_u32 s69, s71, s69
	s_addc_u32 s68, 0, s68
	s_mul_hi_u32 s72, s67, s70
	s_mul_i32 s70, s67, s70
	s_add_u32 s69, s69, s70
	s_mul_hi_u32 s71, s67, s7
	s_addc_u32 s68, s68, s72
	s_addc_u32 s69, s71, 0
	s_mul_i32 s7, s67, s7
	s_add_u32 s7, s68, s7
	s_addc_u32 s68, 0, s69
	s_add_u32 s69, s6, s7
	s_cselect_b64 s[6:7], -1, 0
	s_cmp_lg_u64 s[6:7], 0
	s_addc_u32 s67, s67, s68
	s_mul_i32 s6, s63, s67
	s_mul_hi_u32 s7, s63, s69
	s_add_i32 s6, s7, s6
	s_mul_i32 s66, s66, s69
	s_add_i32 s6, s6, s66
	s_mul_i32 s63, s63, s69
	s_mul_hi_u32 s66, s67, s63
	s_mul_i32 s68, s67, s63
	s_mul_i32 s71, s69, s6
	s_mul_hi_u32 s63, s69, s63
	s_mul_hi_u32 s70, s69, s6
	s_add_u32 s63, s63, s71
	s_addc_u32 s70, 0, s70
	s_add_u32 s63, s63, s68
	s_mul_hi_u32 s7, s67, s6
	s_addc_u32 s63, s70, s66
	s_addc_u32 s7, s7, 0
	s_mul_i32 s6, s67, s6
	s_add_u32 s6, s63, s6
	s_addc_u32 s63, 0, s7
	s_add_u32 s66, s69, s6
	v_ashrrev_i32_e32 v6, 31, v5
	s_cselect_b64 s[6:7], -1, 0
	v_mov_b32_e32 v7, v6
	s_cmp_lg_u64 s[6:7], 0
	v_lshl_add_u64 v[4:5], v[4:5], 0, v[6:7]
	s_addc_u32 s63, s67, s63
	v_xor_b32_e32 v7, v4, v6
	v_xor_b32_e32 v3, v5, v6
	v_mad_u64_u32 v[4:5], s[6:7], v7, s63, 0
	v_mul_hi_u32 v12, v7, s66
	v_lshl_add_u64 v[4:5], v[12:13], 0, v[4:5]
	v_mad_u64_u32 v[14:15], s[6:7], v3, s66, 0
	v_add_co_u32_e32 v4, vcc, v4, v14
	v_mad_u64_u32 v[12:13], s[6:7], v3, s63, 0
	s_nop 0
	v_addc_co_u32_e32 v4, vcc, v5, v15, vcc
	v_mov_b32_e32 v5, v2
	s_nop 0
	v_addc_co_u32_e32 v13, vcc, 0, v13, vcc
	v_lshl_add_u64 v[4:5], v[4:5], 0, v[12:13]
	v_mul_lo_u32 v14, s65, v4
	v_mul_lo_u32 v15, s64, v5
	v_mad_u64_u32 v[12:13], s[6:7], s64, v4, 0
	v_add3_u32 v16, v13, v15, v14
	v_sub_u32_e32 v13, v3, v16
	v_mov_b32_e32 v14, s65
	v_sub_co_u32_e32 v7, vcc, v7, v12
	s_nop 1
	v_subb_co_u32_e64 v12, s[6:7], v13, v14, vcc
	v_subrev_co_u32_e64 v13, s[6:7], s64, v7
	v_subb_co_u32_e32 v3, vcc, v3, v16, vcc
	s_nop 0
	v_subbrev_co_u32_e64 v12, s[6:7], 0, v12, s[6:7]
	v_cmp_le_u32_e64 s[6:7], s65, v12
	v_cmp_le_u32_e32 vcc, s65, v3
	s_nop 0
	v_cndmask_b32_e64 v14, 0, -1, s[6:7]
	v_cmp_le_u32_e64 s[6:7], s64, v13
	s_nop 1
	v_cndmask_b32_e64 v13, 0, -1, s[6:7]
	v_cmp_eq_u32_e64 s[6:7], s65, v12
	s_nop 1
	v_cndmask_b32_e64 v17, v14, v13, s[6:7]
	v_lshl_add_u64 v[12:13], v[4:5], 0, 2
	v_lshl_add_u64 v[14:15], v[4:5], 0, 1
	v_cmp_ne_u32_e64 s[6:7], 0, v17
	s_nop 1
	v_cndmask_b32_e64 v13, v15, v13, s[6:7]
	v_cndmask_b32_e64 v15, 0, -1, vcc
	v_cmp_le_u32_e32 vcc, s64, v7
	s_nop 1
	v_cndmask_b32_e64 v7, 0, -1, vcc
	v_cmp_eq_u32_e32 vcc, s65, v3
	s_nop 1
	v_cndmask_b32_e32 v3, v15, v7, vcc
	v_cmp_ne_u32_e32 vcc, 0, v3
	s_nop 1
	v_cndmask_b32_e32 v3, v5, v13, vcc
	v_cndmask_b32_e64 v5, v14, v12, s[6:7]
	v_cndmask_b32_e32 v4, v4, v5, vcc
	v_xor_b32_e32 v5, s62, v6
	v_xor_b32_e32 v4, v4, v5
	;; [unrolled: 1-line block ×3, first 2 shown]
	v_sub_co_u32_e32 v6, vcc, v4, v5
                                        ; implicit-def: $vgpr4
	s_nop 1
	v_subb_co_u32_e32 v7, vcc, v3, v5, vcc
.LBB21_10:                              ;   in Loop: Header=BB21_3 Depth=1
	s_andn2_saveexec_b64 s[6:7], s[60:61]
	s_cbranch_execz .LBB21_12
; %bb.11:                               ;   in Loop: Header=BB21_3 Depth=1
	v_cvt_f32_u32_e32 v3, s82
	s_sub_i32 s60, 0, s82
	v_mov_b32_e32 v7, v2
	v_rcp_iflag_f32_e32 v3, v3
	s_nop 0
	v_mul_f32_e32 v3, 0x4f7ffffe, v3
	v_cvt_u32_f32_e32 v3, v3
	v_mul_lo_u32 v5, s60, v3
	v_mul_hi_u32 v5, v3, v5
	v_add_u32_e32 v3, v3, v5
	v_mul_hi_u32 v3, v4, v3
	v_mul_lo_u32 v5, v3, s82
	v_sub_u32_e32 v4, v4, v5
	v_add_u32_e32 v6, 1, v3
	v_subrev_u32_e32 v5, s82, v4
	v_cmp_le_u32_e32 vcc, s82, v4
	s_nop 1
	v_cndmask_b32_e32 v4, v4, v5, vcc
	v_cndmask_b32_e32 v3, v3, v6, vcc
	v_add_u32_e32 v5, 1, v3
	v_cmp_le_u32_e32 vcc, s82, v4
	s_nop 1
	v_cndmask_b32_e32 v6, v3, v5, vcc
.LBB21_12:                              ;   in Loop: Header=BB21_3 Depth=1
	s_or_b64 exec, exec, s[6:7]
	v_lshl_add_u64 v[4:5], v[6:7], 0, 1
.LBB21_13:                              ;   in Loop: Header=BB21_3 Depth=1
	s_or_b64 exec, exec, s[8:9]
	v_or_b32_e32 v3, s33, v11
	v_cmp_ne_u64_e32 vcc, 0, v[2:3]
                                        ; implicit-def: $vgpr6_vgpr7
	s_and_saveexec_b64 s[6:7], vcc
	s_xor_b64 s[8:9], exec, s[6:7]
	s_cbranch_execz .LBB21_15
; %bb.14:                               ;   in Loop: Header=BB21_3 Depth=1
	s_ashr_i32 s60, s33, 31
	s_add_u32 s6, s82, s60
	s_mov_b32 s61, s60
	s_addc_u32 s7, s33, s60
	s_xor_b64 s[62:63], s[6:7], s[60:61]
	v_cvt_f32_u32_e32 v3, s62
	v_cvt_f32_u32_e32 v6, s63
	s_sub_u32 s61, 0, s62
	s_subb_u32 s64, 0, s63
	v_mov_b32_e32 v13, v2
	v_fmac_f32_e32 v3, 0x4f800000, v6
	v_rcp_f32_e32 v3, v3
	s_nop 0
	v_mul_f32_e32 v3, 0x5f7ffffc, v3
	v_mul_f32_e32 v6, 0x2f800000, v3
	v_trunc_f32_e32 v6, v6
	v_fmac_f32_e32 v3, 0xcf800000, v6
	v_cvt_u32_f32_e32 v6, v6
	v_cvt_u32_f32_e32 v3, v3
	v_readfirstlane_b32 s65, v6
	v_readfirstlane_b32 s6, v3
	s_mul_i32 s7, s61, s65
	s_mul_hi_u32 s67, s61, s6
	s_mul_i32 s66, s64, s6
	s_add_i32 s7, s67, s7
	s_add_i32 s7, s7, s66
	s_mul_i32 s68, s61, s6
	s_mul_i32 s67, s6, s7
	s_mul_hi_u32 s69, s6, s68
	s_mul_hi_u32 s66, s6, s7
	s_add_u32 s67, s69, s67
	s_addc_u32 s66, 0, s66
	s_mul_hi_u32 s70, s65, s68
	s_mul_i32 s68, s65, s68
	s_add_u32 s67, s67, s68
	s_mul_hi_u32 s69, s65, s7
	s_addc_u32 s66, s66, s70
	s_addc_u32 s67, s69, 0
	s_mul_i32 s7, s65, s7
	s_add_u32 s7, s66, s7
	s_addc_u32 s66, 0, s67
	s_add_u32 s67, s6, s7
	s_cselect_b64 s[6:7], -1, 0
	s_cmp_lg_u64 s[6:7], 0
	s_addc_u32 s65, s65, s66
	s_mul_i32 s6, s61, s65
	s_mul_hi_u32 s7, s61, s67
	s_add_i32 s6, s7, s6
	s_mul_i32 s64, s64, s67
	s_add_i32 s6, s6, s64
	s_mul_i32 s61, s61, s67
	s_mul_hi_u32 s64, s65, s61
	s_mul_i32 s66, s65, s61
	s_mul_i32 s69, s67, s6
	s_mul_hi_u32 s61, s67, s61
	s_mul_hi_u32 s68, s67, s6
	s_add_u32 s61, s61, s69
	s_addc_u32 s68, 0, s68
	s_add_u32 s61, s61, s66
	s_mul_hi_u32 s7, s65, s6
	s_addc_u32 s61, s68, s64
	s_addc_u32 s7, s7, 0
	s_mul_i32 s6, s65, s6
	s_add_u32 s6, s61, s6
	s_addc_u32 s61, 0, s7
	s_add_u32 s64, s67, s6
	v_ashrrev_i32_e32 v6, 31, v11
	s_cselect_b64 s[6:7], -1, 0
	v_mov_b32_e32 v7, v6
	s_cmp_lg_u64 s[6:7], 0
	v_lshl_add_u64 v[10:11], v[10:11], 0, v[6:7]
	s_addc_u32 s61, s65, s61
	v_xor_b32_e32 v7, v10, v6
	v_xor_b32_e32 v3, v11, v6
	v_mad_u64_u32 v[10:11], s[6:7], v7, s61, 0
	v_mul_hi_u32 v12, v7, s64
	v_lshl_add_u64 v[10:11], v[12:13], 0, v[10:11]
	v_mad_u64_u32 v[14:15], s[6:7], v3, s64, 0
	v_add_co_u32_e32 v10, vcc, v10, v14
	v_mad_u64_u32 v[12:13], s[6:7], v3, s61, 0
	s_nop 0
	v_addc_co_u32_e32 v10, vcc, v11, v15, vcc
	v_mov_b32_e32 v11, v2
	s_nop 0
	v_addc_co_u32_e32 v13, vcc, 0, v13, vcc
	v_lshl_add_u64 v[10:11], v[10:11], 0, v[12:13]
	v_mul_lo_u32 v14, s63, v10
	v_mul_lo_u32 v15, s62, v11
	v_mad_u64_u32 v[12:13], s[6:7], s62, v10, 0
	v_add3_u32 v16, v13, v15, v14
	v_sub_u32_e32 v13, v3, v16
	v_mov_b32_e32 v14, s63
	v_sub_co_u32_e32 v7, vcc, v7, v12
	s_nop 1
	v_subb_co_u32_e64 v12, s[6:7], v13, v14, vcc
	v_subrev_co_u32_e64 v13, s[6:7], s62, v7
	v_subb_co_u32_e32 v3, vcc, v3, v16, vcc
	s_nop 0
	v_subbrev_co_u32_e64 v12, s[6:7], 0, v12, s[6:7]
	v_cmp_le_u32_e64 s[6:7], s63, v12
	v_cmp_le_u32_e32 vcc, s63, v3
	s_nop 0
	v_cndmask_b32_e64 v14, 0, -1, s[6:7]
	v_cmp_le_u32_e64 s[6:7], s62, v13
	s_nop 1
	v_cndmask_b32_e64 v13, 0, -1, s[6:7]
	v_cmp_eq_u32_e64 s[6:7], s63, v12
	s_nop 1
	v_cndmask_b32_e64 v17, v14, v13, s[6:7]
	v_lshl_add_u64 v[12:13], v[10:11], 0, 2
	v_lshl_add_u64 v[14:15], v[10:11], 0, 1
	v_cmp_ne_u32_e64 s[6:7], 0, v17
	s_nop 1
	v_cndmask_b32_e64 v13, v15, v13, s[6:7]
	v_cndmask_b32_e64 v15, 0, -1, vcc
	v_cmp_le_u32_e32 vcc, s62, v7
	s_nop 1
	v_cndmask_b32_e64 v7, 0, -1, vcc
	v_cmp_eq_u32_e32 vcc, s63, v3
	s_nop 1
	v_cndmask_b32_e32 v3, v15, v7, vcc
	v_cmp_ne_u32_e32 vcc, 0, v3
	v_cndmask_b32_e64 v7, v14, v12, s[6:7]
	s_nop 0
	v_cndmask_b32_e32 v7, v10, v7, vcc
	v_xor_b32_e32 v10, s60, v6
	v_cndmask_b32_e32 v3, v11, v13, vcc
	v_xor_b32_e32 v6, v7, v10
	v_xor_b32_e32 v3, v3, v10
	v_sub_co_u32_e32 v6, vcc, v6, v10
	s_nop 1
	v_subb_co_u32_e32 v7, vcc, v3, v10, vcc
                                        ; implicit-def: $vgpr10_vgpr11
.LBB21_15:                              ;   in Loop: Header=BB21_3 Depth=1
	s_andn2_saveexec_b64 s[6:7], s[8:9]
	s_cbranch_execz .LBB21_17
; %bb.16:                               ;   in Loop: Header=BB21_3 Depth=1
	v_cvt_f32_u32_e32 v3, s82
	s_sub_i32 s8, 0, s82
	v_rcp_iflag_f32_e32 v3, v3
	s_nop 0
	v_mul_f32_e32 v3, 0x4f7ffffe, v3
	v_cvt_u32_f32_e32 v3, v3
	v_mul_lo_u32 v6, s8, v3
	v_mul_hi_u32 v6, v3, v6
	v_add_u32_e32 v3, v3, v6
	v_mul_hi_u32 v3, v10, v3
	v_mul_lo_u32 v6, v3, s82
	v_sub_u32_e32 v6, v10, v6
	v_add_u32_e32 v7, 1, v3
	v_subrev_u32_e32 v10, s82, v6
	v_cmp_le_u32_e32 vcc, s82, v6
	s_nop 1
	v_cndmask_b32_e32 v6, v6, v10, vcc
	v_cndmask_b32_e32 v3, v3, v7, vcc
	v_add_u32_e32 v7, 1, v3
	v_cmp_le_u32_e32 vcc, s82, v6
	s_nop 1
	v_cndmask_b32_e32 v6, v3, v7, vcc
	v_mov_b32_e32 v7, v2
.LBB21_17:                              ;   in Loop: Header=BB21_3 Depth=1
	s_or_b64 exec, exec, s[6:7]
	v_mul_lo_u32 v3, v9, s22
	v_mul_lo_u32 v10, v8, s23
	v_mad_u64_u32 v[8:9], s[6:7], v8, s22, 0
	v_add3_u32 v3, v9, v10, v3
	v_sub_co_u32_e32 v8, vcc, v0, v8
	s_nop 1
	v_subb_co_u32_e32 v9, vcc, v1, v3, vcc
	v_lshl_add_u64 v[10:11], v[8:9], 0, s[40:41]
	v_cmp_le_i64_e32 vcc, s[38:39], v[10:11]
	v_mov_b64_e32 v[8:9], 0
	s_and_saveexec_b64 s[8:9], vcc
	s_cbranch_execz .LBB21_23
; %bb.18:                               ;   in Loop: Header=BB21_3 Depth=1
	v_mov_b32_e32 v3, s39
	v_subrev_co_u32_e32 v8, vcc, s38, v10
                                        ; implicit-def: $vgpr12_vgpr13
	s_nop 1
	v_subb_co_u32_e32 v9, vcc, v11, v3, vcc
	v_or_b32_e32 v3, s83, v9
	v_cmp_ne_u64_e32 vcc, 0, v[2:3]
	s_and_saveexec_b64 s[6:7], vcc
	s_xor_b64 s[60:61], exec, s[6:7]
	s_cbranch_execz .LBB21_20
; %bb.19:                               ;   in Loop: Header=BB21_3 Depth=1
	s_ashr_i32 s62, s83, 31
	s_add_u32 s6, s84, s62
	s_mov_b32 s63, s62
	s_addc_u32 s7, s83, s62
	s_xor_b64 s[64:65], s[6:7], s[62:63]
	v_cvt_f32_u32_e32 v3, s64
	v_cvt_f32_u32_e32 v12, s65
	s_sub_u32 s63, 0, s64
	s_subb_u32 s66, 0, s65
	v_mov_b32_e32 v15, v2
	v_fmac_f32_e32 v3, 0x4f800000, v12
	v_rcp_f32_e32 v3, v3
	s_nop 0
	v_mul_f32_e32 v3, 0x5f7ffffc, v3
	v_mul_f32_e32 v12, 0x2f800000, v3
	v_trunc_f32_e32 v12, v12
	v_fmac_f32_e32 v3, 0xcf800000, v12
	v_cvt_u32_f32_e32 v12, v12
	v_cvt_u32_f32_e32 v3, v3
	v_readfirstlane_b32 s67, v12
	v_readfirstlane_b32 s6, v3
	s_mul_i32 s7, s63, s67
	s_mul_hi_u32 s69, s63, s6
	s_mul_i32 s68, s66, s6
	s_add_i32 s7, s69, s7
	s_add_i32 s7, s7, s68
	s_mul_i32 s70, s63, s6
	s_mul_i32 s69, s6, s7
	s_mul_hi_u32 s71, s6, s70
	s_mul_hi_u32 s68, s6, s7
	s_add_u32 s69, s71, s69
	s_addc_u32 s68, 0, s68
	s_mul_hi_u32 s72, s67, s70
	s_mul_i32 s70, s67, s70
	s_add_u32 s69, s69, s70
	s_mul_hi_u32 s71, s67, s7
	s_addc_u32 s68, s68, s72
	s_addc_u32 s69, s71, 0
	s_mul_i32 s7, s67, s7
	s_add_u32 s7, s68, s7
	s_addc_u32 s68, 0, s69
	s_add_u32 s69, s6, s7
	s_cselect_b64 s[6:7], -1, 0
	s_cmp_lg_u64 s[6:7], 0
	s_addc_u32 s67, s67, s68
	s_mul_i32 s6, s63, s67
	s_mul_hi_u32 s7, s63, s69
	s_add_i32 s6, s7, s6
	s_mul_i32 s66, s66, s69
	s_add_i32 s6, s6, s66
	s_mul_i32 s63, s63, s69
	s_mul_hi_u32 s66, s67, s63
	s_mul_i32 s68, s67, s63
	s_mul_i32 s71, s69, s6
	s_mul_hi_u32 s63, s69, s63
	s_mul_hi_u32 s70, s69, s6
	s_add_u32 s63, s63, s71
	s_addc_u32 s70, 0, s70
	s_add_u32 s63, s63, s68
	s_mul_hi_u32 s7, s67, s6
	s_addc_u32 s63, s70, s66
	s_addc_u32 s7, s7, 0
	s_mul_i32 s6, s67, s6
	s_add_u32 s6, s63, s6
	s_addc_u32 s63, 0, s7
	s_add_u32 s66, s69, s6
	v_ashrrev_i32_e32 v12, 31, v9
	s_cselect_b64 s[6:7], -1, 0
	v_mov_b32_e32 v13, v12
	s_cmp_lg_u64 s[6:7], 0
	v_lshl_add_u64 v[8:9], v[8:9], 0, v[12:13]
	s_addc_u32 s63, s67, s63
	v_xor_b32_e32 v13, v8, v12
	v_xor_b32_e32 v3, v9, v12
	v_mad_u64_u32 v[8:9], s[6:7], v13, s63, 0
	v_mul_hi_u32 v14, v13, s66
	v_lshl_add_u64 v[8:9], v[14:15], 0, v[8:9]
	v_mad_u64_u32 v[16:17], s[6:7], v3, s66, 0
	v_add_co_u32_e32 v8, vcc, v8, v16
	v_mad_u64_u32 v[14:15], s[6:7], v3, s63, 0
	s_nop 0
	v_addc_co_u32_e32 v8, vcc, v9, v17, vcc
	v_mov_b32_e32 v9, v2
	s_nop 0
	v_addc_co_u32_e32 v15, vcc, 0, v15, vcc
	v_lshl_add_u64 v[8:9], v[8:9], 0, v[14:15]
	v_mul_lo_u32 v16, s65, v8
	v_mul_lo_u32 v17, s64, v9
	v_mad_u64_u32 v[14:15], s[6:7], s64, v8, 0
	v_add3_u32 v18, v15, v17, v16
	v_sub_u32_e32 v15, v3, v18
	v_mov_b32_e32 v16, s65
	v_sub_co_u32_e32 v13, vcc, v13, v14
	s_nop 1
	v_subb_co_u32_e64 v14, s[6:7], v15, v16, vcc
	v_subrev_co_u32_e64 v15, s[6:7], s64, v13
	v_subb_co_u32_e32 v3, vcc, v3, v18, vcc
	s_nop 0
	v_subbrev_co_u32_e64 v14, s[6:7], 0, v14, s[6:7]
	v_cmp_le_u32_e64 s[6:7], s65, v14
	v_cmp_le_u32_e32 vcc, s65, v3
	s_nop 0
	v_cndmask_b32_e64 v16, 0, -1, s[6:7]
	v_cmp_le_u32_e64 s[6:7], s64, v15
	s_nop 1
	v_cndmask_b32_e64 v15, 0, -1, s[6:7]
	v_cmp_eq_u32_e64 s[6:7], s65, v14
	s_nop 1
	v_cndmask_b32_e64 v19, v16, v15, s[6:7]
	v_lshl_add_u64 v[14:15], v[8:9], 0, 2
	v_lshl_add_u64 v[16:17], v[8:9], 0, 1
	v_cmp_ne_u32_e64 s[6:7], 0, v19
	s_nop 1
	v_cndmask_b32_e64 v15, v17, v15, s[6:7]
	v_cndmask_b32_e64 v17, 0, -1, vcc
	v_cmp_le_u32_e32 vcc, s64, v13
	s_nop 1
	v_cndmask_b32_e64 v13, 0, -1, vcc
	v_cmp_eq_u32_e32 vcc, s65, v3
	s_nop 1
	v_cndmask_b32_e32 v3, v17, v13, vcc
	v_cmp_ne_u32_e32 vcc, 0, v3
	s_nop 1
	v_cndmask_b32_e32 v3, v9, v15, vcc
	v_cndmask_b32_e64 v9, v16, v14, s[6:7]
	v_cndmask_b32_e32 v8, v8, v9, vcc
	v_xor_b32_e32 v9, s62, v12
	v_xor_b32_e32 v8, v8, v9
	;; [unrolled: 1-line block ×3, first 2 shown]
	v_sub_co_u32_e32 v12, vcc, v8, v9
                                        ; implicit-def: $vgpr8
	s_nop 1
	v_subb_co_u32_e32 v13, vcc, v3, v9, vcc
.LBB21_20:                              ;   in Loop: Header=BB21_3 Depth=1
	s_andn2_saveexec_b64 s[6:7], s[60:61]
	s_cbranch_execz .LBB21_22
; %bb.21:                               ;   in Loop: Header=BB21_3 Depth=1
	v_cvt_f32_u32_e32 v3, s84
	s_sub_i32 s60, 0, s84
	v_mov_b32_e32 v13, v2
	v_rcp_iflag_f32_e32 v3, v3
	s_nop 0
	v_mul_f32_e32 v3, 0x4f7ffffe, v3
	v_cvt_u32_f32_e32 v3, v3
	v_mul_lo_u32 v9, s60, v3
	v_mul_hi_u32 v9, v3, v9
	v_add_u32_e32 v3, v3, v9
	v_mul_hi_u32 v3, v8, v3
	v_mul_lo_u32 v9, v3, s84
	v_sub_u32_e32 v8, v8, v9
	v_add_u32_e32 v12, 1, v3
	v_subrev_u32_e32 v9, s84, v8
	v_cmp_le_u32_e32 vcc, s84, v8
	s_nop 1
	v_cndmask_b32_e32 v8, v8, v9, vcc
	v_cndmask_b32_e32 v3, v3, v12, vcc
	v_add_u32_e32 v9, 1, v3
	v_cmp_le_u32_e32 vcc, s84, v8
	s_nop 1
	v_cndmask_b32_e32 v12, v3, v9, vcc
.LBB21_22:                              ;   in Loop: Header=BB21_3 Depth=1
	s_or_b64 exec, exec, s[6:7]
	v_lshl_add_u64 v[8:9], v[12:13], 0, 1
.LBB21_23:                              ;   in Loop: Header=BB21_3 Depth=1
	s_or_b64 exec, exec, s[8:9]
	v_or_b32_e32 v3, s83, v11
	v_cmp_ne_u64_e32 vcc, 0, v[2:3]
                                        ; implicit-def: $vgpr12_vgpr13
	s_and_saveexec_b64 s[6:7], vcc
	s_xor_b64 s[8:9], exec, s[6:7]
	s_cbranch_execnz .LBB21_26
; %bb.24:                               ;   in Loop: Header=BB21_3 Depth=1
	s_andn2_saveexec_b64 s[6:7], s[8:9]
	s_cbranch_execnz .LBB21_27
.LBB21_25:                              ;   in Loop: Header=BB21_3 Depth=1
	s_or_b64 exec, exec, s[6:7]
	s_andn2_b64 vcc, exec, s[0:1]
	s_cbranch_vccnz .LBB21_2
	s_branch .LBB21_28
.LBB21_26:                              ;   in Loop: Header=BB21_3 Depth=1
	s_ashr_i32 s60, s83, 31
	s_add_u32 s6, s84, s60
	s_mov_b32 s61, s60
	s_addc_u32 s7, s83, s60
	s_xor_b64 s[62:63], s[6:7], s[60:61]
	v_cvt_f32_u32_e32 v3, s62
	v_cvt_f32_u32_e32 v12, s63
	s_sub_u32 s61, 0, s62
	s_subb_u32 s64, 0, s63
	v_mov_b32_e32 v15, v2
	v_fmac_f32_e32 v3, 0x4f800000, v12
	v_rcp_f32_e32 v3, v3
	s_nop 0
	v_mul_f32_e32 v3, 0x5f7ffffc, v3
	v_mul_f32_e32 v12, 0x2f800000, v3
	v_trunc_f32_e32 v12, v12
	v_fmac_f32_e32 v3, 0xcf800000, v12
	v_cvt_u32_f32_e32 v12, v12
	v_cvt_u32_f32_e32 v3, v3
	v_readfirstlane_b32 s65, v12
	v_readfirstlane_b32 s6, v3
	s_mul_i32 s7, s61, s65
	s_mul_hi_u32 s67, s61, s6
	s_mul_i32 s66, s64, s6
	s_add_i32 s7, s67, s7
	s_add_i32 s7, s7, s66
	s_mul_i32 s68, s61, s6
	s_mul_i32 s67, s6, s7
	s_mul_hi_u32 s69, s6, s68
	s_mul_hi_u32 s66, s6, s7
	s_add_u32 s67, s69, s67
	s_addc_u32 s66, 0, s66
	s_mul_hi_u32 s70, s65, s68
	s_mul_i32 s68, s65, s68
	s_add_u32 s67, s67, s68
	s_mul_hi_u32 s69, s65, s7
	s_addc_u32 s66, s66, s70
	s_addc_u32 s67, s69, 0
	s_mul_i32 s7, s65, s7
	s_add_u32 s7, s66, s7
	s_addc_u32 s66, 0, s67
	s_add_u32 s67, s6, s7
	s_cselect_b64 s[6:7], -1, 0
	s_cmp_lg_u64 s[6:7], 0
	s_addc_u32 s65, s65, s66
	s_mul_i32 s6, s61, s65
	s_mul_hi_u32 s7, s61, s67
	s_add_i32 s6, s7, s6
	s_mul_i32 s64, s64, s67
	s_add_i32 s6, s6, s64
	s_mul_i32 s61, s61, s67
	s_mul_hi_u32 s64, s65, s61
	s_mul_i32 s66, s65, s61
	s_mul_i32 s69, s67, s6
	s_mul_hi_u32 s61, s67, s61
	s_mul_hi_u32 s68, s67, s6
	s_add_u32 s61, s61, s69
	s_addc_u32 s68, 0, s68
	s_add_u32 s61, s61, s66
	s_mul_hi_u32 s7, s65, s6
	s_addc_u32 s61, s68, s64
	s_addc_u32 s7, s7, 0
	s_mul_i32 s6, s65, s6
	s_add_u32 s6, s61, s6
	s_addc_u32 s61, 0, s7
	s_add_u32 s64, s67, s6
	v_ashrrev_i32_e32 v12, 31, v11
	s_cselect_b64 s[6:7], -1, 0
	v_mov_b32_e32 v13, v12
	s_cmp_lg_u64 s[6:7], 0
	v_lshl_add_u64 v[10:11], v[10:11], 0, v[12:13]
	s_addc_u32 s61, s65, s61
	v_xor_b32_e32 v13, v10, v12
	v_xor_b32_e32 v3, v11, v12
	v_mad_u64_u32 v[10:11], s[6:7], v13, s61, 0
	v_mul_hi_u32 v14, v13, s64
	v_lshl_add_u64 v[10:11], v[14:15], 0, v[10:11]
	v_mad_u64_u32 v[16:17], s[6:7], v3, s64, 0
	v_add_co_u32_e32 v10, vcc, v10, v16
	v_mad_u64_u32 v[14:15], s[6:7], v3, s61, 0
	s_nop 0
	v_addc_co_u32_e32 v10, vcc, v11, v17, vcc
	v_mov_b32_e32 v11, v2
	s_nop 0
	v_addc_co_u32_e32 v15, vcc, 0, v15, vcc
	v_lshl_add_u64 v[10:11], v[10:11], 0, v[14:15]
	v_mul_lo_u32 v16, s63, v10
	v_mul_lo_u32 v17, s62, v11
	v_mad_u64_u32 v[14:15], s[6:7], s62, v10, 0
	v_add3_u32 v18, v15, v17, v16
	v_sub_u32_e32 v15, v3, v18
	v_mov_b32_e32 v16, s63
	v_sub_co_u32_e32 v13, vcc, v13, v14
	s_nop 1
	v_subb_co_u32_e64 v14, s[6:7], v15, v16, vcc
	v_subrev_co_u32_e64 v15, s[6:7], s62, v13
	v_subb_co_u32_e32 v3, vcc, v3, v18, vcc
	s_nop 0
	v_subbrev_co_u32_e64 v14, s[6:7], 0, v14, s[6:7]
	v_cmp_le_u32_e64 s[6:7], s63, v14
	v_cmp_le_u32_e32 vcc, s63, v3
	s_nop 0
	v_cndmask_b32_e64 v16, 0, -1, s[6:7]
	v_cmp_le_u32_e64 s[6:7], s62, v15
	s_nop 1
	v_cndmask_b32_e64 v15, 0, -1, s[6:7]
	v_cmp_eq_u32_e64 s[6:7], s63, v14
	s_nop 1
	v_cndmask_b32_e64 v19, v16, v15, s[6:7]
	v_lshl_add_u64 v[14:15], v[10:11], 0, 2
	v_lshl_add_u64 v[16:17], v[10:11], 0, 1
	v_cmp_ne_u32_e64 s[6:7], 0, v19
	s_nop 1
	v_cndmask_b32_e64 v15, v17, v15, s[6:7]
	v_cndmask_b32_e64 v17, 0, -1, vcc
	v_cmp_le_u32_e32 vcc, s62, v13
	s_nop 1
	v_cndmask_b32_e64 v13, 0, -1, vcc
	v_cmp_eq_u32_e32 vcc, s63, v3
	s_nop 1
	v_cndmask_b32_e32 v3, v17, v13, vcc
	v_cmp_ne_u32_e32 vcc, 0, v3
	s_nop 1
	v_cndmask_b32_e32 v3, v11, v15, vcc
	v_cndmask_b32_e64 v11, v16, v14, s[6:7]
	v_cndmask_b32_e32 v10, v10, v11, vcc
	v_xor_b32_e32 v11, s60, v12
	v_xor_b32_e32 v10, v10, v11
	;; [unrolled: 1-line block ×3, first 2 shown]
	v_sub_co_u32_e32 v12, vcc, v10, v11
	s_nop 1
	v_subb_co_u32_e32 v13, vcc, v3, v11, vcc
                                        ; implicit-def: $vgpr10_vgpr11
	s_andn2_saveexec_b64 s[6:7], s[8:9]
	s_cbranch_execz .LBB21_25
.LBB21_27:                              ;   in Loop: Header=BB21_3 Depth=1
	v_cvt_f32_u32_e32 v3, s84
	s_sub_i32 s8, 0, s84
	v_mov_b32_e32 v13, v2
	v_rcp_iflag_f32_e32 v3, v3
	s_nop 0
	v_mul_f32_e32 v3, 0x4f7ffffe, v3
	v_cvt_u32_f32_e32 v3, v3
	v_mul_lo_u32 v11, s8, v3
	v_mul_hi_u32 v11, v3, v11
	v_add_u32_e32 v3, v3, v11
	v_mul_hi_u32 v3, v10, v3
	v_mul_lo_u32 v11, v3, s84
	v_sub_u32_e32 v10, v10, v11
	v_add_u32_e32 v12, 1, v3
	v_subrev_u32_e32 v11, s84, v10
	v_cmp_le_u32_e32 vcc, s84, v10
	s_nop 1
	v_cndmask_b32_e32 v10, v10, v11, vcc
	v_cndmask_b32_e32 v3, v3, v12, vcc
	v_add_u32_e32 v11, 1, v3
	v_cmp_le_u32_e32 vcc, s84, v10
	s_nop 1
	v_cndmask_b32_e32 v12, v3, v11, vcc
	s_or_b64 exec, exec, s[6:7]
	s_andn2_b64 vcc, exec, s[0:1]
	s_cbranch_vccnz .LBB21_2
.LBB21_28:                              ;   in Loop: Header=BB21_3 Depth=1
	v_lshl_add_u64 v[10:11], v[12:13], 0, 1
	v_mov_b32_e32 v3, s27
	v_cmp_gt_i64_e32 vcc, s[26:27], v[10:11]
	s_load_dword s85, s[28:29], 0x4
	v_lshl_add_u64 v[6:7], v[6:7], 0, 1
	v_cndmask_b32_e32 v11, v3, v11, vcc
	v_mov_b32_e32 v3, s26
	v_cndmask_b32_e32 v10, v3, v10, vcc
	v_mov_b32_e32 v3, s25
	v_cmp_gt_i64_e32 vcc, s[24:25], v[6:7]
	v_lshl_add_u64 v[14:15], s[44:45], 0, v[4:5]
	v_mad_u64_u32 v[16:17], s[60:61], s26, v14, v[8:9]
	v_cndmask_b32_e32 v7, v3, v7, vcc
	v_mov_b32_e32 v3, s24
	v_cndmask_b32_e32 v6, v3, v6, vcc
	v_mul_lo_u32 v3, s26, v15
	v_mul_lo_u32 v15, s27, v14
	v_add3_u32 v17, v15, v17, v3
	s_waitcnt lgkmcnt(0)
	s_mul_i32 s60, s47, s85
	s_mul_hi_u32 s61, s46, s85
	s_mul_i32 s62, s53, s85
	s_mul_hi_u32 s63, s52, s85
	v_lshl_add_u64 v[12:13], v[0:1], 2, s[30:31]
	v_cmp_lt_i64_e64 s[6:7], v[4:5], v[6:7]
	v_cmp_lt_i64_e64 s[8:9], v[8:9], v[10:11]
	v_lshl_add_u64 v[14:15], v[16:17], 3, s[14:15]
	s_add_i32 s61, s61, s60
	s_mul_i32 s60, s46, s85
	v_lshl_add_u64 v[16:17], v[16:17], 2, s[12:13]
	s_add_i32 s63, s63, s62
	s_mul_i32 s62, s52, s85
	s_mov_b64 s[64:65], s[10:11]
	s_branch .LBB21_30
.LBB21_29:                              ;   in Loop: Header=BB21_30 Depth=2
	s_add_u32 s64, s64, s85
	s_addc_u32 s65, s65, 0
	v_mov_b64_e32 v[18:19], s[16:17]
	v_cmp_ge_i64_e32 vcc, s[64:65], v[18:19]
	v_lshl_add_u64 v[14:15], v[14:15], 0, s[60:61]
	v_lshl_add_u64 v[16:17], v[16:17], 0, s[62:63]
	s_cbranch_vccnz .LBB21_2
.LBB21_30:                              ;   Parent Loop BB21_3 Depth=1
                                        ; =>  This Loop Header: Depth=2
                                        ;       Child Loop BB21_34 Depth 3
                                        ;         Child Loop BB21_38 Depth 4
                                        ;           Child Loop BB21_41 Depth 5
	s_andn2_b64 vcc, exec, s[2:3]
	s_cbranch_vccnz .LBB21_29
; %bb.31:                               ;   in Loop: Header=BB21_30 Depth=2
	s_load_dword s86, s[28:29], 0x8
	s_mul_i32 s66, s64, s19
	s_mul_hi_u32 s67, s64, s18
	s_add_i32 s66, s67, s66
	s_mul_i32 s67, s65, s18
	s_add_i32 s87, s66, s67
	s_waitcnt lgkmcnt(0)
	s_mul_i32 s66, s49, s86
	s_mul_hi_u32 s67, s48, s86
	s_mul_i32 s68, s55, s86
	s_mul_hi_u32 s69, s54, s86
	s_mul_i32 s88, s64, s18
	s_add_i32 s67, s67, s66
	s_mul_i32 s66, s48, s86
	s_add_i32 s69, s69, s68
	s_mul_i32 s68, s54, s86
	v_mov_b64_e32 v[18:19], v[16:17]
	v_mov_b64_e32 v[20:21], v[14:15]
	s_mov_b64 s[70:71], s[4:5]
	s_branch .LBB21_34
.LBB21_32:                              ;   in Loop: Header=BB21_34 Depth=3
	s_or_b64 exec, exec, s[74:75]
.LBB21_33:                              ;   in Loop: Header=BB21_34 Depth=3
	s_or_b64 exec, exec, s[72:73]
	s_add_u32 s72, s70, s88
	s_addc_u32 s73, s71, s87
	s_mul_i32 s73, s20, s73
	s_mul_hi_u32 s74, s20, s72
	s_add_i32 s73, s74, s73
	s_mul_i32 s74, s21, s72
	s_add_i32 s73, s73, s74
	s_mul_i32 s72, s20, s72
	v_lshl_add_u64 v[22:23], s[72:73], 2, v[12:13]
	s_add_u32 s70, s70, s86
	global_store_dword v[22:23], v3, off
	s_addc_u32 s71, s71, 0
	v_mov_b64_e32 v[22:23], s[18:19]
	v_cmp_ge_i64_e32 vcc, s[70:71], v[22:23]
	v_lshl_add_u64 v[20:21], v[20:21], 0, s[66:67]
	v_lshl_add_u64 v[18:19], v[18:19], 0, s[68:69]
	s_cbranch_vccnz .LBB21_29
.LBB21_34:                              ;   Parent Loop BB21_3 Depth=1
                                        ;     Parent Loop BB21_30 Depth=2
                                        ; =>    This Loop Header: Depth=3
                                        ;         Child Loop BB21_38 Depth 4
                                        ;           Child Loop BB21_41 Depth 5
	v_mov_b32_e32 v3, 0
	s_and_saveexec_b64 s[72:73], s[6:7]
	s_cbranch_execz .LBB21_33
; %bb.35:                               ;   in Loop: Header=BB21_34 Depth=3
	v_mov_b32_e32 v3, 0
	s_mov_b64 s[74:75], 0
	v_mov_b64_e32 v[22:23], v[18:19]
	v_mov_b64_e32 v[24:25], v[20:21]
	;; [unrolled: 1-line block ×3, first 2 shown]
	s_branch .LBB21_38
.LBB21_36:                              ;   in Loop: Header=BB21_38 Depth=4
	s_or_b64 exec, exec, s[78:79]
.LBB21_37:                              ;   in Loop: Header=BB21_38 Depth=4
	s_or_b64 exec, exec, s[76:77]
	v_lshl_add_u64 v[26:27], v[26:27], 0, 1
	v_cmp_ge_i64_e32 vcc, v[26:27], v[6:7]
	v_lshl_add_u64 v[24:25], v[24:25], 0, s[50:51]
	s_or_b64 s[74:75], vcc, s[74:75]
	v_lshl_add_u64 v[22:23], v[22:23], 0, s[56:57]
	s_andn2_b64 exec, exec, s[74:75]
	s_cbranch_execz .LBB21_32
.LBB21_38:                              ;   Parent Loop BB21_3 Depth=1
                                        ;     Parent Loop BB21_30 Depth=2
                                        ;       Parent Loop BB21_34 Depth=3
                                        ; =>      This Loop Header: Depth=4
                                        ;           Child Loop BB21_41 Depth 5
	s_and_saveexec_b64 s[76:77], s[8:9]
	s_cbranch_execz .LBB21_37
; %bb.39:                               ;   in Loop: Header=BB21_38 Depth=4
	s_mov_b64 s[78:79], 0
	v_mov_b64_e32 v[28:29], v[22:23]
	v_mov_b64_e32 v[30:31], v[24:25]
	;; [unrolled: 1-line block ×3, first 2 shown]
	s_branch .LBB21_41
.LBB21_40:                              ;   in Loop: Header=BB21_41 Depth=5
	s_or_b64 exec, exec, s[80:81]
	v_lshl_add_u64 v[32:33], v[32:33], 0, 1
	v_cmp_ge_i64_e32 vcc, v[32:33], v[10:11]
	v_lshl_add_u64 v[30:31], v[30:31], 0, 8
	s_or_b64 s[78:79], vcc, s[78:79]
	v_lshl_add_u64 v[28:29], v[28:29], 0, 4
	s_andn2_b64 exec, exec, s[78:79]
	s_cbranch_execz .LBB21_36
.LBB21_41:                              ;   Parent Loop BB21_3 Depth=1
                                        ;     Parent Loop BB21_30 Depth=2
                                        ;       Parent Loop BB21_34 Depth=3
                                        ;         Parent Loop BB21_38 Depth=4
                                        ; =>        This Inner Loop Header: Depth=5
	global_load_dwordx2 v[36:37], v[30:31], off
	s_waitcnt vmcnt(0)
	v_cmp_eq_u64_e32 vcc, v[36:37], v[0:1]
	s_and_saveexec_b64 s[80:81], vcc
	s_cbranch_execz .LBB21_40
; %bb.42:                               ;   in Loop: Header=BB21_41 Depth=5
	global_load_dword v35, v[28:29], off
	s_waitcnt vmcnt(0)
	v_add_f32_e32 v3, v3, v35
	s_branch .LBB21_40
.LBB21_43:
	s_endpgm
	.section	.rodata,"a",@progbits
	.p2align	6, 0x0
	.amdhsa_kernel _ZN2at6native12_GLOBAL__N_122max_pool_backward_nchwIfflEEvPKT_PKlT1_S8_S8_S8_S8_S8_iiiiiiiiPS3_
		.amdhsa_group_segment_fixed_size 0
		.amdhsa_private_segment_fixed_size 0
		.amdhsa_kernarg_size 360
		.amdhsa_user_sgpr_count 2
		.amdhsa_user_sgpr_dispatch_ptr 0
		.amdhsa_user_sgpr_queue_ptr 0
		.amdhsa_user_sgpr_kernarg_segment_ptr 1
		.amdhsa_user_sgpr_dispatch_id 0
		.amdhsa_user_sgpr_kernarg_preload_length 0
		.amdhsa_user_sgpr_kernarg_preload_offset 0
		.amdhsa_user_sgpr_private_segment_size 0
		.amdhsa_uses_dynamic_stack 0
		.amdhsa_enable_private_segment 0
		.amdhsa_system_sgpr_workgroup_id_x 1
		.amdhsa_system_sgpr_workgroup_id_y 1
		.amdhsa_system_sgpr_workgroup_id_z 1
		.amdhsa_system_sgpr_workgroup_info 0
		.amdhsa_system_vgpr_workitem_id 0
		.amdhsa_next_free_vgpr 38
		.amdhsa_next_free_sgpr 89
		.amdhsa_accum_offset 40
		.amdhsa_reserve_vcc 1
		.amdhsa_float_round_mode_32 0
		.amdhsa_float_round_mode_16_64 0
		.amdhsa_float_denorm_mode_32 3
		.amdhsa_float_denorm_mode_16_64 3
		.amdhsa_dx10_clamp 1
		.amdhsa_ieee_mode 1
		.amdhsa_fp16_overflow 0
		.amdhsa_tg_split 0
		.amdhsa_exception_fp_ieee_invalid_op 0
		.amdhsa_exception_fp_denorm_src 0
		.amdhsa_exception_fp_ieee_div_zero 0
		.amdhsa_exception_fp_ieee_overflow 0
		.amdhsa_exception_fp_ieee_underflow 0
		.amdhsa_exception_fp_ieee_inexact 0
		.amdhsa_exception_int_div_zero 0
	.end_amdhsa_kernel
	.section	.text._ZN2at6native12_GLOBAL__N_122max_pool_backward_nchwIfflEEvPKT_PKlT1_S8_S8_S8_S8_S8_iiiiiiiiPS3_,"axG",@progbits,_ZN2at6native12_GLOBAL__N_122max_pool_backward_nchwIfflEEvPKT_PKlT1_S8_S8_S8_S8_S8_iiiiiiiiPS3_,comdat
.Lfunc_end21:
	.size	_ZN2at6native12_GLOBAL__N_122max_pool_backward_nchwIfflEEvPKT_PKlT1_S8_S8_S8_S8_S8_iiiiiiiiPS3_, .Lfunc_end21-_ZN2at6native12_GLOBAL__N_122max_pool_backward_nchwIfflEEvPKT_PKlT1_S8_S8_S8_S8_S8_iiiiiiiiPS3_
                                        ; -- End function
	.set _ZN2at6native12_GLOBAL__N_122max_pool_backward_nchwIfflEEvPKT_PKlT1_S8_S8_S8_S8_S8_iiiiiiiiPS3_.num_vgpr, 38
	.set _ZN2at6native12_GLOBAL__N_122max_pool_backward_nchwIfflEEvPKT_PKlT1_S8_S8_S8_S8_S8_iiiiiiiiPS3_.num_agpr, 0
	.set _ZN2at6native12_GLOBAL__N_122max_pool_backward_nchwIfflEEvPKT_PKlT1_S8_S8_S8_S8_S8_iiiiiiiiPS3_.numbered_sgpr, 89
	.set _ZN2at6native12_GLOBAL__N_122max_pool_backward_nchwIfflEEvPKT_PKlT1_S8_S8_S8_S8_S8_iiiiiiiiPS3_.num_named_barrier, 0
	.set _ZN2at6native12_GLOBAL__N_122max_pool_backward_nchwIfflEEvPKT_PKlT1_S8_S8_S8_S8_S8_iiiiiiiiPS3_.private_seg_size, 0
	.set _ZN2at6native12_GLOBAL__N_122max_pool_backward_nchwIfflEEvPKT_PKlT1_S8_S8_S8_S8_S8_iiiiiiiiPS3_.uses_vcc, 1
	.set _ZN2at6native12_GLOBAL__N_122max_pool_backward_nchwIfflEEvPKT_PKlT1_S8_S8_S8_S8_S8_iiiiiiiiPS3_.uses_flat_scratch, 0
	.set _ZN2at6native12_GLOBAL__N_122max_pool_backward_nchwIfflEEvPKT_PKlT1_S8_S8_S8_S8_S8_iiiiiiiiPS3_.has_dyn_sized_stack, 0
	.set _ZN2at6native12_GLOBAL__N_122max_pool_backward_nchwIfflEEvPKT_PKlT1_S8_S8_S8_S8_S8_iiiiiiiiPS3_.has_recursion, 0
	.set _ZN2at6native12_GLOBAL__N_122max_pool_backward_nchwIfflEEvPKT_PKlT1_S8_S8_S8_S8_S8_iiiiiiiiPS3_.has_indirect_call, 0
	.section	.AMDGPU.csdata,"",@progbits
; Kernel info:
; codeLenInByte = 5152
; TotalNumSgprs: 95
; NumVgprs: 38
; NumAgprs: 0
; TotalNumVgprs: 38
; ScratchSize: 0
; MemoryBound: 0
; FloatMode: 240
; IeeeMode: 1
; LDSByteSize: 0 bytes/workgroup (compile time only)
; SGPRBlocks: 11
; VGPRBlocks: 4
; NumSGPRsForWavesPerEU: 95
; NumVGPRsForWavesPerEU: 38
; AccumOffset: 40
; Occupancy: 8
; WaveLimiterHint : 0
; COMPUTE_PGM_RSRC2:SCRATCH_EN: 0
; COMPUTE_PGM_RSRC2:USER_SGPR: 2
; COMPUTE_PGM_RSRC2:TRAP_HANDLER: 0
; COMPUTE_PGM_RSRC2:TGID_X_EN: 1
; COMPUTE_PGM_RSRC2:TGID_Y_EN: 1
; COMPUTE_PGM_RSRC2:TGID_Z_EN: 1
; COMPUTE_PGM_RSRC2:TIDIG_COMP_CNT: 0
; COMPUTE_PGM_RSRC3_GFX90A:ACCUM_OFFSET: 9
; COMPUTE_PGM_RSRC3_GFX90A:TG_SPLIT: 0
	.section	.text._ZN2at6native12_GLOBAL__N_122max_pool_backward_nhwcIN3c104HalfEfEEvPKT_PKlillliiiiiiiiiiiiiiiPS5_,"axG",@progbits,_ZN2at6native12_GLOBAL__N_122max_pool_backward_nhwcIN3c104HalfEfEEvPKT_PKlillliiiiiiiiiiiiiiiPS5_,comdat
	.globl	_ZN2at6native12_GLOBAL__N_122max_pool_backward_nhwcIN3c104HalfEfEEvPKT_PKlillliiiiiiiiiiiiiiiPS5_ ; -- Begin function _ZN2at6native12_GLOBAL__N_122max_pool_backward_nhwcIN3c104HalfEfEEvPKT_PKlillliiiiiiiiiiiiiiiPS5_
	.p2align	8
	.type	_ZN2at6native12_GLOBAL__N_122max_pool_backward_nhwcIN3c104HalfEfEEvPKT_PKlillliiiiiiiiiiiiiiiPS5_,@function
_ZN2at6native12_GLOBAL__N_122max_pool_backward_nhwcIN3c104HalfEfEEvPKT_PKlillliiiiiiiiiiiiiiiPS5_: ; @_ZN2at6native12_GLOBAL__N_122max_pool_backward_nhwcIN3c104HalfEfEEvPKT_PKlillliiiiiiiiiiiiiiiPS5_
; %bb.0:
	s_load_dword s40, s[0:1], 0x10
	s_load_dwordx4 s[8:11], s[0:1], 0x7c
	s_load_dwordx8 s[12:19], s[0:1], 0x30
	s_load_dwordx8 s[20:27], s[0:1], 0x50
	v_and_b32_e32 v6, 0x3ff, v0
	s_waitcnt lgkmcnt(0)
	v_cvt_f32_u32_e32 v1, s40
	v_bfe_u32 v2, v0, 10, 10
	v_bfe_u32 v3, v0, 20, 10
	s_lshr_b32 s62, s10, 16
	v_rcp_iflag_f32_e32 v1, v1
	s_and_b32 s27, s10, 0xffff
	v_mad_u32_u24 v7, v3, s62, v2
	s_sub_i32 s5, 0, s40
	v_mul_f32_e32 v0, 0x4f7ffffe, v1
	v_cvt_u32_f32_e32 v4, v0
	v_mad_u64_u32 v[0:1], s[6:7], v7, s27, v[6:7]
	s_and_b32 s33, s11, 0xffff
	v_readfirstlane_b32 s6, v4
	s_mul_i32 s5, s5, s6
	s_mul_hi_u32 s5, s6, s5
	s_add_i32 s6, s6, s5
	s_mul_i32 s5, s26, s27
	s_mul_i32 s5, s5, s62
	;; [unrolled: 1-line block ×3, first 2 shown]
	s_mul_hi_u32 s41, s2, s6
	v_cmp_gt_u32_e32 vcc, s5, v0
	s_and_saveexec_b64 s[6:7], vcc
	s_cbranch_execz .LBB22_3
; %bb.1:
	s_mul_i32 s28, s62, s27
	s_mul_i32 s28, s28, s33
	v_lshl_add_u32 v1, v0, 2, 0
	s_lshl_b32 s29, s28, 2
	s_mov_b64 s[10:11], 0
	v_mov_b32_e32 v4, 0
.LBB22_2:                               ; =>This Inner Loop Header: Depth=1
	v_add_u32_e32 v0, s28, v0
	v_cmp_le_u32_e32 vcc, s5, v0
	ds_write_b32 v1, v4
	s_or_b64 s[10:11], vcc, s[10:11]
	v_add_u32_e32 v1, s29, v1
	s_andn2_b64 exec, exec, s[10:11]
	s_cbranch_execnz .LBB22_2
.LBB22_3:
	s_or_b64 exec, exec, s[6:7]
	s_load_dwordx4 s[28:31], s[0:1], 0x18
	s_load_dwordx2 s[10:11], s[0:1], 0x28
	s_mov_b32 s5, s9
	s_mov_b32 s36, 0
	s_mov_b64 s[34:35], -1
	s_waitcnt lgkmcnt(0)
	s_add_u32 s6, s30, s9
	s_addc_u32 s7, s31, 0
	s_add_u32 s9, s6, -1
	s_addc_u32 s37, s7, -1
	s_cmp_lg_u64 s[36:37], 0
	s_barrier
	s_cbranch_scc0 .LBB22_60
; %bb.4:
	s_add_u32 s6, s5, 0
	s_addc_u32 s7, 0, 0
	s_xor_b64 s[6:7], s[6:7], 0
	v_cvt_f32_u32_e32 v0, s6
	v_cvt_f32_u32_e32 v1, s7
	s_sub_u32 s36, 0, s6
	s_subb_u32 s42, 0, s7
	v_fmamk_f32 v0, v1, 0x4f800000, v0
	v_rcp_f32_e32 v0, v0
	s_nop 0
	v_mul_f32_e32 v0, 0x5f7ffffc, v0
	v_mul_f32_e32 v1, 0x2f800000, v0
	v_trunc_f32_e32 v1, v1
	v_fmamk_f32 v0, v1, 0xcf800000, v0
	v_cvt_u32_f32_e32 v1, v1
	v_cvt_u32_f32_e32 v0, v0
	v_readfirstlane_b32 s43, v1
	v_readfirstlane_b32 s38, v0
	s_mul_i32 s39, s36, s43
	s_mul_hi_u32 s45, s36, s38
	s_mul_i32 s44, s42, s38
	s_add_i32 s39, s45, s39
	s_add_i32 s39, s39, s44
	s_mul_i32 s46, s36, s38
	s_mul_i32 s45, s38, s39
	s_mul_hi_u32 s47, s38, s46
	s_mul_hi_u32 s44, s38, s39
	s_add_u32 s45, s47, s45
	s_addc_u32 s44, 0, s44
	s_mul_hi_u32 s48, s43, s46
	s_mul_i32 s46, s43, s46
	s_add_u32 s45, s45, s46
	s_mul_hi_u32 s47, s43, s39
	s_addc_u32 s44, s44, s48
	s_addc_u32 s45, s47, 0
	s_mul_i32 s39, s43, s39
	s_add_u32 s39, s44, s39
	s_addc_u32 s44, 0, s45
	s_add_u32 s45, s38, s39
	s_cselect_b64 s[38:39], -1, 0
	s_cmp_lg_u64 s[38:39], 0
	s_addc_u32 s43, s43, s44
	s_mul_i32 s38, s36, s43
	s_mul_hi_u32 s39, s36, s45
	s_add_i32 s38, s39, s38
	s_mul_i32 s42, s42, s45
	s_add_i32 s38, s38, s42
	s_mul_i32 s36, s36, s45
	s_mul_hi_u32 s42, s43, s36
	s_mul_i32 s44, s43, s36
	s_mul_i32 s47, s45, s38
	s_mul_hi_u32 s36, s45, s36
	s_mul_hi_u32 s46, s45, s38
	s_add_u32 s36, s36, s47
	s_addc_u32 s46, 0, s46
	s_add_u32 s36, s36, s44
	s_mul_hi_u32 s39, s43, s38
	s_addc_u32 s36, s46, s42
	s_addc_u32 s39, s39, 0
	s_mul_i32 s38, s43, s38
	s_add_u32 s36, s36, s38
	s_addc_u32 s42, 0, s39
	s_add_u32 s44, s45, s36
	s_cselect_b64 s[38:39], -1, 0
	s_cmp_lg_u64 s[38:39], 0
	s_addc_u32 s42, s43, s42
	s_ashr_i32 s38, s37, 31
	s_add_u32 s36, s9, s38
	s_mov_b32 s39, s38
	s_addc_u32 s37, s37, s38
	s_xor_b64 s[36:37], s[36:37], s[38:39]
	s_mul_i32 s45, s36, s42
	s_mul_hi_u32 s46, s36, s44
	s_mul_hi_u32 s43, s36, s42
	s_add_u32 s45, s46, s45
	s_addc_u32 s43, 0, s43
	s_mul_hi_u32 s47, s37, s44
	s_mul_i32 s44, s37, s44
	s_add_u32 s44, s45, s44
	s_mul_hi_u32 s46, s37, s42
	s_addc_u32 s43, s43, s47
	s_addc_u32 s44, s46, 0
	s_mul_i32 s42, s37, s42
	s_add_u32 s46, s43, s42
	s_addc_u32 s47, 0, s44
	s_mul_i32 s42, s6, s47
	s_mul_hi_u32 s43, s6, s46
	s_add_i32 s42, s43, s42
	s_mul_i32 s43, s7, s46
	s_add_i32 s48, s42, s43
	s_sub_i32 s44, s37, s48
	s_mul_i32 s42, s6, s46
	s_sub_u32 s36, s36, s42
	s_cselect_b64 s[42:43], -1, 0
	s_cmp_lg_u64 s[42:43], 0
	s_subb_u32 s49, s44, s7
	s_sub_u32 s50, s36, s6
	s_cselect_b64 s[44:45], -1, 0
	s_cmp_lg_u64 s[44:45], 0
	s_subb_u32 s44, s49, 0
	s_cmp_ge_u32 s44, s7
	s_cselect_b32 s45, -1, 0
	s_cmp_ge_u32 s50, s6
	s_cselect_b32 s49, -1, 0
	s_cmp_eq_u32 s44, s7
	s_cselect_b32 s44, s49, s45
	s_add_u32 s45, s46, 1
	s_addc_u32 s49, s47, 0
	s_add_u32 s50, s46, 2
	s_addc_u32 s51, s47, 0
	s_cmp_lg_u32 s44, 0
	s_cselect_b32 s44, s50, s45
	s_cselect_b32 s45, s51, s49
	s_cmp_lg_u64 s[42:43], 0
	s_subb_u32 s37, s37, s48
	s_cmp_ge_u32 s37, s7
	s_cselect_b32 s42, -1, 0
	s_cmp_ge_u32 s36, s6
	s_cselect_b32 s6, -1, 0
	s_cmp_eq_u32 s37, s7
	s_cselect_b32 s6, s6, s42
	s_cmp_lg_u32 s6, 0
	s_cselect_b32 s7, s45, s47
	s_cselect_b32 s6, s44, s46
	s_xor_b64 s[36:37], s[38:39], 0
	s_xor_b64 s[6:7], s[6:7], s[36:37]
	s_sub_u32 s6, s6, s36
	s_subb_u32 s7, s7, s37
	s_cbranch_execnz .LBB22_6
.LBB22_5:
	v_cvt_f32_u32_e32 v0, s5
	s_sub_i32 s6, 0, s5
	s_mov_b32 s7, 0
	v_rcp_iflag_f32_e32 v0, v0
	s_nop 0
	v_mul_f32_e32 v0, 0x4f7ffffe, v0
	v_cvt_u32_f32_e32 v0, v0
	s_nop 0
	v_readfirstlane_b32 s34, v0
	s_mul_i32 s6, s6, s34
	s_mul_hi_u32 s6, s34, s6
	s_add_i32 s34, s34, s6
	s_mul_hi_u32 s6, s9, s34
	s_mul_i32 s35, s6, s5
	s_sub_i32 s9, s9, s35
	s_add_i32 s34, s6, 1
	s_sub_i32 s35, s9, s5
	s_cmp_ge_u32 s9, s5
	s_cselect_b32 s6, s34, s6
	s_cselect_b32 s9, s35, s9
	s_add_i32 s34, s6, 1
	s_cmp_ge_u32 s9, s5
	s_cselect_b32 s6, s34, s6
.LBB22_6:
	s_add_u32 s5, s10, s8
	s_addc_u32 s9, s11, 0
	s_add_u32 s5, s5, -1
	s_mov_b32 s38, 0
	s_addc_u32 s39, s9, -1
	s_cmp_lg_u64 s[38:39], 0
	s_mov_b64 s[34:35], -1
	s_cbranch_scc0 .LBB22_61
; %bb.7:
	s_add_u32 s34, s8, 0
	s_addc_u32 s35, 0, 0
	s_xor_b64 s[36:37], s[34:35], 0
	v_cvt_f32_u32_e32 v0, s36
	v_cvt_f32_u32_e32 v1, s37
	s_sub_u32 s9, 0, s36
	s_subb_u32 s38, 0, s37
	v_fmamk_f32 v0, v1, 0x4f800000, v0
	v_rcp_f32_e32 v0, v0
	s_nop 0
	v_mul_f32_e32 v0, 0x5f7ffffc, v0
	v_mul_f32_e32 v1, 0x2f800000, v0
	v_trunc_f32_e32 v1, v1
	v_fmamk_f32 v0, v1, 0xcf800000, v0
	v_cvt_u32_f32_e32 v1, v1
	v_cvt_u32_f32_e32 v0, v0
	v_readfirstlane_b32 s44, v1
	v_readfirstlane_b32 s42, v0
	s_mul_i32 s43, s9, s44
	s_mul_hi_u32 s46, s9, s42
	s_mul_i32 s45, s38, s42
	s_add_i32 s43, s46, s43
	s_add_i32 s43, s43, s45
	s_mul_i32 s47, s9, s42
	s_mul_i32 s46, s42, s43
	s_mul_hi_u32 s48, s42, s47
	s_mul_hi_u32 s45, s42, s43
	s_add_u32 s46, s48, s46
	s_addc_u32 s45, 0, s45
	s_mul_hi_u32 s49, s44, s47
	s_mul_i32 s47, s44, s47
	s_add_u32 s46, s46, s47
	s_mul_hi_u32 s48, s44, s43
	s_addc_u32 s45, s45, s49
	s_addc_u32 s46, s48, 0
	s_mul_i32 s43, s44, s43
	s_add_u32 s43, s45, s43
	s_addc_u32 s45, 0, s46
	s_add_u32 s46, s42, s43
	s_cselect_b64 s[42:43], -1, 0
	s_cmp_lg_u64 s[42:43], 0
	s_addc_u32 s44, s44, s45
	s_mul_i32 s42, s9, s44
	s_mul_hi_u32 s43, s9, s46
	s_add_i32 s42, s43, s42
	s_mul_i32 s38, s38, s46
	s_add_i32 s42, s42, s38
	s_mul_i32 s9, s9, s46
	s_mul_hi_u32 s43, s44, s9
	s_mul_i32 s45, s44, s9
	s_mul_i32 s48, s46, s42
	s_mul_hi_u32 s9, s46, s9
	s_mul_hi_u32 s47, s46, s42
	s_add_u32 s9, s9, s48
	s_addc_u32 s47, 0, s47
	s_add_u32 s9, s9, s45
	s_mul_hi_u32 s38, s44, s42
	s_addc_u32 s9, s47, s43
	s_addc_u32 s38, s38, 0
	s_mul_i32 s42, s44, s42
	s_add_u32 s9, s9, s42
	s_addc_u32 s38, 0, s38
	s_add_u32 s9, s46, s9
	s_cselect_b64 s[42:43], -1, 0
	s_cmp_lg_u64 s[42:43], 0
	s_addc_u32 s44, s44, s38
	s_ashr_i32 s42, s39, 31
	s_add_u32 s38, s5, s42
	s_mov_b32 s43, s42
	s_addc_u32 s39, s39, s42
	s_xor_b64 s[38:39], s[38:39], s[42:43]
	s_mul_i32 s46, s38, s44
	s_mul_hi_u32 s47, s38, s9
	s_mul_hi_u32 s45, s38, s44
	s_add_u32 s46, s47, s46
	s_addc_u32 s45, 0, s45
	s_mul_hi_u32 s48, s39, s9
	s_mul_i32 s9, s39, s9
	s_add_u32 s9, s46, s9
	s_mul_hi_u32 s47, s39, s44
	s_addc_u32 s9, s45, s48
	s_addc_u32 s45, s47, 0
	s_mul_i32 s44, s39, s44
	s_add_u32 s9, s9, s44
	s_addc_u32 s48, 0, s45
	s_mul_i32 s44, s36, s48
	s_mul_hi_u32 s45, s36, s9
	s_add_i32 s44, s45, s44
	s_mul_i32 s45, s37, s9
	s_add_i32 s49, s44, s45
	s_sub_i32 s46, s39, s49
	s_mul_i32 s44, s36, s9
	s_sub_u32 s38, s38, s44
	s_cselect_b64 s[44:45], -1, 0
	s_cmp_lg_u64 s[44:45], 0
	s_subb_u32 s50, s46, s37
	s_sub_u32 s51, s38, s36
	s_cselect_b64 s[46:47], -1, 0
	s_cmp_lg_u64 s[46:47], 0
	s_subb_u32 s46, s50, 0
	s_cmp_ge_u32 s46, s37
	s_cselect_b32 s47, -1, 0
	s_cmp_ge_u32 s51, s36
	s_cselect_b32 s50, -1, 0
	s_cmp_eq_u32 s46, s37
	s_cselect_b32 s46, s50, s47
	s_add_u32 s47, s9, 1
	s_addc_u32 s50, s48, 0
	s_add_u32 s51, s9, 2
	s_addc_u32 s52, s48, 0
	s_cmp_lg_u32 s46, 0
	s_cselect_b32 s46, s51, s47
	s_cselect_b32 s47, s52, s50
	s_cmp_lg_u64 s[44:45], 0
	s_subb_u32 s39, s39, s49
	s_cmp_ge_u32 s39, s37
	s_cselect_b32 s44, -1, 0
	s_cmp_ge_u32 s38, s36
	s_cselect_b32 s36, -1, 0
	s_cmp_eq_u32 s39, s37
	s_cselect_b32 s36, s36, s44
	s_cmp_lg_u32 s36, 0
	s_cselect_b32 s37, s47, s48
	s_cselect_b32 s36, s46, s9
	s_xor_b64 s[38:39], s[42:43], 0
	s_xor_b64 s[36:37], s[36:37], s[38:39]
	s_sub_u32 s36, s36, s38
	s_subb_u32 s37, s37, s39
	s_cbranch_execnz .LBB22_9
.LBB22_8:
	v_cvt_f32_u32_e32 v0, s8
	s_sub_i32 s9, 0, s8
	s_mov_b32 s37, 0
	v_rcp_iflag_f32_e32 v0, v0
	s_nop 0
	v_mul_f32_e32 v0, 0x4f7ffffe, v0
	v_cvt_u32_f32_e32 v0, v0
	s_nop 0
	v_readfirstlane_b32 s34, v0
	s_mul_i32 s9, s9, s34
	s_mul_hi_u32 s9, s34, s9
	s_add_i32 s34, s34, s9
	s_mul_hi_u32 s9, s5, s34
	s_mul_i32 s35, s9, s8
	s_sub_i32 s5, s5, s35
	s_add_i32 s34, s9, 1
	s_sub_i32 s35, s5, s8
	s_cmp_ge_u32 s5, s8
	s_cselect_b32 s9, s34, s9
	s_cselect_b32 s5, s35, s5
	s_add_i32 s34, s9, 1
	s_cmp_ge_u32 s5, s8
	s_cselect_b32 s36, s34, s9
.LBB22_9:
	s_mul_i32 s4, s4, s6
	v_add_u32_e32 v0, s4, v3
	v_ashrrev_i32_e32 v1, 31, v0
	s_bfe_i64 s[4:5], s[6:7], 0x200000
	v_lshl_add_u64 v[4:5], s[4:5], 0, v[0:1]
	v_mov_b32_e32 v1, s30
	v_cmp_gt_i64_e32 vcc, s[30:31], v[4:5]
	s_nop 1
	v_cndmask_b32_e32 v1, v1, v4, vcc
	v_cmp_lt_i32_e32 vcc, v0, v1
	s_and_saveexec_b64 s[4:5], vcc
	s_cbranch_execz .LBB22_59
; %bb.10:
	s_mul_i32 s3, s3, s36
	v_add_u32_e32 v2, s3, v2
	v_ashrrev_i32_e32 v3, 31, v2
	s_bfe_i64 s[4:5], s[36:37], 0x200000
	v_lshl_add_u64 v[4:5], s[4:5], 0, v[2:3]
	s_load_dwordx4 s[4:7], s[0:1], 0x0
	s_load_dwordx2 s[8:9], s[0:1], 0x70
	s_mul_i32 s0, s41, s40
	s_sub_i32 s0, s2, s0
	s_add_i32 s1, s41, 1
	s_sub_i32 s3, s0, s40
	s_cmp_ge_u32 s0, s40
	s_cselect_b32 s1, s1, s41
	s_cselect_b32 s0, s3, s0
	s_add_i32 s3, s1, 1
	s_cmp_ge_u32 s0, s40
	s_cselect_b32 s38, s3, s1
	s_mul_i32 s1, s30, s29
	s_mul_hi_u32 s3, s30, s28
	s_add_i32 s1, s3, s1
	s_mul_i32 s3, s31, s28
	s_mul_i32 s0, s38, s40
	s_add_i32 s1, s1, s3
	s_mul_i32 s3, s30, s28
	v_cmp_gt_i64_e32 vcc, s[10:11], v[4:5]
	s_sub_i32 s2, s2, s0
	s_mul_i32 s11, s3, s11
	s_mul_hi_u32 s30, s3, s10
	s_ashr_i32 s0, s2, 31
	s_add_i32 s11, s30, s11
	s_mul_i32 s1, s1, s10
	s_mul_i32 s3, s3, s10
	s_add_i32 s1, s11, s1
	s_mul_i32 s0, s3, s0
	s_mul_hi_u32 s11, s3, s2
	s_mul_i32 s1, s1, s2
	s_add_i32 s0, s11, s0
	s_add_i32 s1, s0, s1
	s_mul_i32 s0, s3, s2
	s_lshl_b64 s[0:1], s[0:1], 1
	s_waitcnt lgkmcnt(0)
	s_add_u32 s30, s8, s0
	s_mul_i32 s0, s13, s12
	s_mul_i32 s0, s0, s2
	s_addc_u32 s31, s9, s1
	s_ashr_i32 s1, s0, 31
	s_mul_i32 s1, s28, s1
	s_mul_hi_u32 s2, s28, s0
	s_add_i32 s1, s2, s1
	s_mul_i32 s2, s29, s0
	s_add_i32 s1, s1, s2
	s_mul_i32 s0, s28, s0
	s_lshl_b64 s[2:3], s[0:1], 3
	s_add_u32 s34, s6, s2
	s_addc_u32 s35, s7, s3
	s_lshl_b64 s[0:1], s[0:1], 1
	s_add_u32 s36, s4, s0
	s_addc_u32 s37, s5, s1
	s_abs_i32 s64, s16
	v_cvt_f32_u32_e32 v5, s64
	s_abs_i32 s68, s17
	v_cvt_f32_u32_e32 v9, s68
	s_sub_i32 s2, 0, s64
	v_rcp_iflag_f32_e32 v8, v5
	v_mov_b32_e32 v3, s10
	v_rcp_iflag_f32_e32 v9, v9
	s_mul_i32 s0, s38, s27
	v_mul_f32_e32 v8, 0x4f7ffffe, v8
	v_cvt_u32_f32_e32 v8, v8
	v_cndmask_b32_e32 v3, v3, v4, vcc
	v_add_u32_e32 v4, s0, v6
	s_add_i32 s0, s14, -1
	v_mul_lo_u32 v10, s2, v8
	v_mul_hi_u32 v10, v8, v10
	v_add_u32_e32 v26, v8, v10
	v_mul_f32_e32 v8, 0x4f7ffffe, v9
	v_cvt_u32_f32_e32 v8, v8
	s_sub_i32 s2, 0, s68
	v_mul_lo_u32 v7, s26, v7
	s_mul_i32 s11, s20, s0
	v_mul_lo_u32 v9, s2, v8
	s_add_i32 s2, s38, s25
	s_add_i32 s0, s15, -1
	s_mul_i32 s2, s2, s27
	v_mul_lo_u32 v7, v7, s27
	s_mul_i32 s65, s21, s0
	v_ashrrev_i32_e32 v5, 31, v4
	s_mul_i32 s67, s25, s27
	v_mul_hi_u32 v9, v8, v9
	v_add_u32_e32 v30, s2, v6
	v_lshlrev_b32_e32 v7, 2, v7
	v_lshlrev_b32_e32 v6, 2, v6
	s_not_b32 s63, s11
	v_cmp_lt_i32_e32 vcc, v2, v3
	s_not_b32 s66, s65
	v_cmp_gt_i64_e64 s[0:1], s[28:29], v[4:5]
	s_ashr_i32 s69, s16, 31
	v_mov_b32_e32 v27, 0
	s_ashr_i32 s70, s17, 31
	v_add_u32_e32 v28, v8, v9
	v_mul_lo_u32 v29, s22, v4
	s_mul_i32 s22, s67, s22
	v_add3_u32 v31, v7, v6, 0
	s_lshl_b32 s25, s27, 2
	s_mov_b64 s[14:15], 0
                                        ; implicit-def: $vgpr32
                                        ; implicit-def: $vgpr33
                                        ; implicit-def: $vgpr34
                                        ; implicit-def: $vgpr35
	s_branch .LBB22_13
.LBB22_11:                              ;   in Loop: Header=BB22_13 Depth=1
	s_or_b64 exec, exec, s[20:21]
.LBB22_12:                              ;   in Loop: Header=BB22_13 Depth=1
	s_or_b64 exec, exec, s[16:17]
	v_add_u32_e32 v0, s33, v0
	v_cmp_ge_i32_e64 s[2:3], v0, v1
	s_or_b64 s[14:15], s[2:3], s[14:15]
	s_andn2_b64 exec, exec, s[14:15]
	s_cbranch_execz .LBB22_59
.LBB22_13:                              ; =>This Loop Header: Depth=1
                                        ;     Child Loop BB22_19 Depth 2
                                        ;       Child Loop BB22_28 Depth 3
                                        ;         Child Loop BB22_31 Depth 4
                                        ;           Child Loop BB22_34 Depth 5
                                        ;       Child Loop BB22_40 Depth 3
                                        ;       Child Loop BB22_51 Depth 3
	;; [unrolled: 1-line block ×3, first 2 shown]
	v_add_u32_e32 v6, s18, v0
	v_cmp_lt_i32_e64 s[2:3], s11, v6
	v_mov_b32_e32 v36, 0
	s_and_saveexec_b64 s[4:5], s[2:3]
	s_cbranch_execz .LBB22_15
; %bb.14:                               ;   in Loop: Header=BB22_13 Depth=1
	v_add_u32_e32 v7, s63, v6
	v_sub_u32_e32 v9, 0, v7
	v_ashrrev_i32_e32 v8, 31, v7
	v_max_i32_e32 v7, v7, v9
	v_mul_hi_u32 v9, v7, v26
	v_mul_lo_u32 v10, v9, s64
	v_sub_u32_e32 v7, v7, v10
	v_add_u32_e32 v10, 1, v9
	v_cmp_le_u32_e64 s[2:3], s64, v7
	v_xor_b32_e32 v8, s69, v8
	s_nop 0
	v_cndmask_b32_e64 v9, v9, v10, s[2:3]
	v_subrev_u32_e32 v10, s64, v7
	v_cndmask_b32_e64 v7, v7, v10, s[2:3]
	v_add_u32_e32 v10, 1, v9
	v_cmp_le_u32_e64 s[2:3], s64, v7
	s_nop 1
	v_cndmask_b32_e64 v7, v9, v10, s[2:3]
	v_xor_b32_e32 v7, v7, v8
	v_sub_u32_e32 v7, v7, v8
	v_add_u32_e32 v36, 1, v7
.LBB22_15:                              ;   in Loop: Header=BB22_13 Depth=1
	s_or_b64 exec, exec, s[4:5]
	s_and_saveexec_b64 s[16:17], vcc
	s_cbranch_execz .LBB22_12
; %bb.16:                               ;   in Loop: Header=BB22_13 Depth=1
	v_sub_u32_e32 v8, 0, v6
	v_ashrrev_i32_e32 v7, 31, v6
	v_max_i32_e32 v6, v6, v8
	v_mul_hi_u32 v8, v6, v26
	v_mul_lo_u32 v9, v8, s64
	v_sub_u32_e32 v6, v6, v9
	v_add_u32_e32 v9, 1, v8
	v_cmp_le_u32_e64 s[2:3], s64, v6
	v_xor_b32_e32 v7, s69, v7
	v_add_u32_e32 v12, 1, v36
	v_cndmask_b32_e64 v8, v8, v9, s[2:3]
	v_subrev_u32_e32 v9, s64, v6
	v_cndmask_b32_e64 v6, v6, v9, s[2:3]
	v_add_u32_e32 v9, 1, v8
	v_cmp_le_u32_e64 s[2:3], s64, v6
	v_mul_lo_u32 v38, v0, s10
	v_mul_lo_u32 v39, s23, v12
	v_cndmask_b32_e64 v6, v8, v9, s[2:3]
	v_xor_b32_e32 v6, v6, v7
	v_sub_u32_e32 v6, v6, v7
	v_add_u32_e32 v6, 1, v6
	v_min_i32_e32 v37, s12, v6
	v_sub_u32_e32 v6, v37, v36
	v_cmp_gt_i32_e64 s[8:9], 3, v6
	v_mul_lo_u32 v6, v36, s23
	v_cmp_eq_u32_e64 s[6:7], v12, v37
	v_ashrrev_i32_e32 v7, 31, v6
	v_add_u32_e32 v10, s23, v6
	v_cmp_gt_i32_e64 s[2:3], v37, v36
	v_lshl_add_u64 v[8:9], v[6:7], 3, s[34:35]
	v_cmp_lt_i32_e64 s[4:5], v12, v37
	v_ashrrev_i32_e32 v11, 31, v10
	s_mov_b64 s[20:21], 0
	s_xor_b64 s[26:27], s[6:7], -1
	s_xor_b64 s[38:39], s[8:9], -1
	v_mov_b32_e32 v40, v2
	s_branch .LBB22_19
.LBB22_17:                              ;   in Loop: Header=BB22_19 Depth=2
	s_or_b64 exec, exec, s[40:41]
.LBB22_18:                              ;   in Loop: Header=BB22_19 Depth=2
	s_or_b64 exec, exec, s[8:9]
	v_add_u32_e32 v40, s62, v40
	v_cmp_ge_i32_e64 s[6:7], v40, v3
	s_or_b64 s[20:21], s[6:7], s[20:21]
	s_andn2_b64 exec, exec, s[20:21]
	s_cbranch_execz .LBB22_11
.LBB22_19:                              ;   Parent Loop BB22_13 Depth=1
                                        ; =>  This Loop Header: Depth=2
                                        ;       Child Loop BB22_28 Depth 3
                                        ;         Child Loop BB22_31 Depth 4
                                        ;           Child Loop BB22_34 Depth 5
                                        ;       Child Loop BB22_40 Depth 3
                                        ;       Child Loop BB22_51 Depth 3
	;; [unrolled: 1-line block ×3, first 2 shown]
	v_add_u32_e32 v12, s19, v40
	v_cmp_lt_i32_e64 s[6:7], s65, v12
	v_mov_b32_e32 v24, 0
	s_and_saveexec_b64 s[8:9], s[6:7]
	s_cbranch_execz .LBB22_21
; %bb.20:                               ;   in Loop: Header=BB22_19 Depth=2
	v_add_u32_e32 v13, s66, v12
	v_sub_u32_e32 v15, 0, v13
	v_ashrrev_i32_e32 v14, 31, v13
	v_max_i32_e32 v13, v13, v15
	v_mul_hi_u32 v15, v13, v28
	v_mul_lo_u32 v16, v15, s68
	v_sub_u32_e32 v13, v13, v16
	v_add_u32_e32 v16, 1, v15
	v_cmp_le_u32_e64 s[6:7], s68, v13
	v_xor_b32_e32 v14, s70, v14
	s_nop 0
	v_cndmask_b32_e64 v15, v15, v16, s[6:7]
	v_subrev_u32_e32 v16, s68, v13
	v_cndmask_b32_e64 v13, v13, v16, s[6:7]
	v_add_u32_e32 v16, 1, v15
	v_cmp_le_u32_e64 s[6:7], s68, v13
	s_nop 1
	v_cndmask_b32_e64 v13, v15, v16, s[6:7]
	v_xor_b32_e32 v13, v13, v14
	v_sub_u32_e32 v13, v13, v14
	v_add_u32_e32 v24, 1, v13
.LBB22_21:                              ;   in Loop: Header=BB22_19 Depth=2
	s_or_b64 exec, exec, s[8:9]
	v_sub_u32_e32 v14, 0, v12
	v_ashrrev_i32_e32 v13, 31, v12
	v_max_i32_e32 v12, v12, v14
	v_mul_hi_u32 v14, v12, v28
	v_mul_lo_u32 v15, v14, s68
	v_sub_u32_e32 v12, v12, v15
	v_add_u32_e32 v15, 1, v14
	v_cmp_le_u32_e64 s[6:7], s68, v12
	v_xor_b32_e32 v13, s70, v13
	s_nop 0
	v_cndmask_b32_e64 v14, v14, v15, s[6:7]
	v_subrev_u32_e32 v15, s68, v12
	v_cndmask_b32_e64 v12, v12, v15, s[6:7]
	v_add_u32_e32 v15, 1, v14
	v_cmp_le_u32_e64 s[6:7], s68, v12
	s_nop 1
	v_cndmask_b32_e64 v12, v14, v15, s[6:7]
	v_xor_b32_e32 v12, v12, v13
	v_sub_u32_e32 v12, v12, v13
	v_add_u32_e32 v12, 1, v12
	v_min_i32_e32 v25, s13, v12
	v_add_u32_e32 v13, 1, v24
	v_cmp_ne_u32_e64 s[6:7], v13, v25
	v_add_u32_e32 v12, v40, v38
	s_or_b64 s[6:7], s[26:27], s[6:7]
	s_and_saveexec_b64 s[8:9], s[6:7]
	s_xor_b64 s[40:41], exec, s[8:9]
	s_cbranch_execz .LBB22_53
; %bb.22:                               ;   in Loop: Header=BB22_19 Depth=2
	v_sub_u32_e32 v14, v25, v24
	v_cmp_lt_i32_e64 s[6:7], 2, v14
	s_or_b64 s[6:7], s[38:39], s[6:7]
	s_and_saveexec_b64 s[8:9], s[6:7]
	s_xor_b64 s[42:43], exec, s[8:9]
	s_cbranch_execnz .LBB22_25
; %bb.23:                               ;   in Loop: Header=BB22_19 Depth=2
	s_andn2_saveexec_b64 s[42:43], s[42:43]
	s_cbranch_execnz .LBB22_37
.LBB22_24:                              ;   in Loop: Header=BB22_19 Depth=2
	s_or_b64 exec, exec, s[42:43]
	s_and_saveexec_b64 s[8:9], s[0:1]
	s_cbranch_execnz .LBB22_50
	s_branch .LBB22_52
.LBB22_25:                              ;   in Loop: Header=BB22_19 Depth=2
	s_and_saveexec_b64 s[44:45], s[2:3]
	s_cbranch_execz .LBB22_36
; %bb.26:                               ;   in Loop: Header=BB22_19 Depth=2
	v_mad_u64_u32 v[14:15], s[8:9], s24, v24, v[6:7]
	v_cmp_gt_i32_e64 s[6:7], v25, v24
	v_ashrrev_i32_e32 v13, 31, v12
	s_mov_b64 s[46:47], 0
	v_mov_b32_e32 v15, v36
	s_branch .LBB22_28
.LBB22_27:                              ;   in Loop: Header=BB22_28 Depth=3
	s_or_b64 exec, exec, s[48:49]
	v_add_u32_e32 v15, 1, v15
	v_cmp_ge_i32_e64 s[8:9], v15, v37
	s_or_b64 s[46:47], s[8:9], s[46:47]
	v_add_u32_e32 v14, s23, v14
	s_andn2_b64 exec, exec, s[46:47]
	s_cbranch_execz .LBB22_36
.LBB22_28:                              ;   Parent Loop BB22_13 Depth=1
                                        ;     Parent Loop BB22_19 Depth=2
                                        ; =>    This Loop Header: Depth=3
                                        ;         Child Loop BB22_31 Depth 4
                                        ;           Child Loop BB22_34 Depth 5
	s_and_saveexec_b64 s[48:49], s[6:7]
	s_cbranch_execz .LBB22_27
; %bb.29:                               ;   in Loop: Header=BB22_28 Depth=3
	v_mul_lo_u32 v16, v15, s23
	v_ashrrev_i32_e32 v17, 31, v16
	v_lshl_add_u64 v[16:17], v[16:17], 3, s[34:35]
	s_mov_b64 s[50:51], 0
	v_mov_b32_e32 v41, v14
	v_mov_b32_e32 v42, v24
	s_branch .LBB22_31
.LBB22_30:                              ;   in Loop: Header=BB22_31 Depth=4
	s_or_b64 exec, exec, s[52:53]
	v_add_u32_e32 v42, 1, v42
	v_cmp_ge_i32_e64 s[8:9], v42, v25
	s_or_b64 s[50:51], s[8:9], s[50:51]
	v_add_u32_e32 v41, s24, v41
	s_andn2_b64 exec, exec, s[50:51]
	s_cbranch_execz .LBB22_27
.LBB22_31:                              ;   Parent Loop BB22_13 Depth=1
                                        ;     Parent Loop BB22_19 Depth=2
                                        ;       Parent Loop BB22_28 Depth=3
                                        ; =>      This Loop Header: Depth=4
                                        ;           Child Loop BB22_34 Depth 5
	s_and_saveexec_b64 s[52:53], s[0:1]
	s_cbranch_execz .LBB22_30
; %bb.32:                               ;   in Loop: Header=BB22_31 Depth=4
	v_mul_lo_u32 v18, v42, s24
	v_ashrrev_i32_e32 v19, 31, v18
	v_lshl_add_u64 v[18:19], v[18:19], 3, v[16:17]
	s_mov_b64 s[54:55], 0
	v_mov_b32_e32 v43, v31
	v_mov_b32_e32 v20, v30
	;; [unrolled: 1-line block ×3, first 2 shown]
	s_branch .LBB22_34
.LBB22_33:                              ;   in Loop: Header=BB22_34 Depth=5
	s_or_b64 exec, exec, s[56:57]
	v_ashrrev_i32_e32 v21, 31, v20
	v_cmp_le_i64_e64 s[8:9], s[28:29], v[20:21]
	v_add_u32_e32 v22, s22, v22
	v_add_u32_e32 v20, s67, v20
	s_or_b64 s[54:55], s[8:9], s[54:55]
	v_add_u32_e32 v43, s25, v43
	s_andn2_b64 exec, exec, s[54:55]
	s_cbranch_execz .LBB22_30
.LBB22_34:                              ;   Parent Loop BB22_13 Depth=1
                                        ;     Parent Loop BB22_19 Depth=2
                                        ;       Parent Loop BB22_28 Depth=3
                                        ;         Parent Loop BB22_31 Depth=4
                                        ; =>        This Inner Loop Header: Depth=5
	v_ashrrev_i32_e32 v23, 31, v22
	v_lshl_add_u64 v[44:45], v[22:23], 3, v[18:19]
	global_load_dwordx2 v[44:45], v[44:45], off
	s_waitcnt vmcnt(0)
	v_cmp_eq_u64_e64 s[8:9], v[44:45], v[12:13]
	s_and_saveexec_b64 s[56:57], s[8:9]
	s_cbranch_execz .LBB22_33
; %bb.35:                               ;   in Loop: Header=BB22_34 Depth=5
	v_add_u32_e32 v44, v41, v22
	v_ashrrev_i32_e32 v45, 31, v44
	v_lshl_add_u64 v[44:45], v[44:45], 1, s[36:37]
	global_load_ushort v21, v[44:45], off
	ds_read_b32 v23, v43
	s_waitcnt vmcnt(0)
	v_cvt_f32_f16_e32 v21, v21
	s_waitcnt lgkmcnt(0)
	v_add_f32_e32 v21, v23, v21
	ds_write_b32 v43, v21
	s_branch .LBB22_33
.LBB22_36:                              ;   in Loop: Header=BB22_19 Depth=2
	s_or_b64 exec, exec, s[44:45]
                                        ; implicit-def: $vgpr25
                                        ; implicit-def: $vgpr24
                                        ; implicit-def: $vgpr13
	s_andn2_saveexec_b64 s[42:43], s[42:43]
	s_cbranch_execz .LBB22_24
.LBB22_37:                              ;   in Loop: Header=BB22_19 Depth=2
	s_and_saveexec_b64 s[44:45], s[0:1]
	s_cbranch_execz .LBB22_49
; %bb.38:                               ;   in Loop: Header=BB22_19 Depth=2
	v_mul_lo_u32 v14, v24, s24
	v_cmp_gt_i32_e64 s[6:7], v25, v24
	v_cmp_lt_i32_e64 s[8:9], v13, v25
	v_add_u32_e32 v16, s24, v14
	s_and_b64 s[46:47], s[2:3], s[6:7]
	v_ashrrev_i32_e32 v15, 31, v14
	s_and_b64 s[48:49], s[2:3], s[8:9]
	v_ashrrev_i32_e32 v17, 31, v16
	s_and_b64 s[50:51], s[4:5], s[6:7]
	s_and_b64 s[8:9], s[4:5], s[8:9]
	v_add_u32_e32 v13, v39, v16
	v_add_u32_e32 v41, v39, v14
	;; [unrolled: 1-line block ×4, first 2 shown]
	s_mov_b64 s[52:53], 0
	v_mov_b32_e32 v44, v31
	v_mov_b32_e32 v18, v30
	;; [unrolled: 1-line block ×3, first 2 shown]
	s_branch .LBB22_40
.LBB22_39:                              ;   in Loop: Header=BB22_40 Depth=3
	s_or_b64 exec, exec, s[60:61]
	s_waitcnt vmcnt(0)
	v_cvt_f32_f16_e32 v19, v35
	v_cvt_f32_f16_e32 v21, v34
	;; [unrolled: 1-line block ×4, first 2 shown]
	v_add_f32_e32 v19, 0, v19
	v_cndmask_b32_e64 v19, 0, v19, s[54:55]
	v_add_f32_e32 v21, v19, v21
	v_cndmask_b32_e64 v19, v19, v21, s[58:59]
	ds_read_b32 v21, v44
	v_add_f32_e32 v22, v19, v22
	v_cndmask_b32_e64 v19, v19, v22, s[56:57]
	v_add_f32_e32 v22, v19, v23
	v_cndmask_b32_e64 v19, v19, v22, s[6:7]
	s_waitcnt lgkmcnt(0)
	v_add_f32_e32 v19, v19, v21
	ds_write_b32 v44, v19
	v_ashrrev_i32_e32 v19, 31, v18
	v_cmp_le_i64_e64 s[6:7], s[28:29], v[18:19]
	v_add_u32_e32 v20, s22, v20
	v_add_u32_e32 v18, s67, v18
	s_or_b64 s[52:53], s[6:7], s[52:53]
	v_add_u32_e32 v44, s25, v44
	s_andn2_b64 exec, exec, s[52:53]
	s_cbranch_execz .LBB22_48
.LBB22_40:                              ;   Parent Loop BB22_13 Depth=1
                                        ;     Parent Loop BB22_19 Depth=2
                                        ; =>    This Inner Loop Header: Depth=3
	v_ashrrev_i32_e32 v21, 31, v20
	v_lshl_add_u64 v[22:23], v[20:21], 3, s[34:35]
	v_lshl_add_u64 v[24:25], v[6:7], 3, v[22:23]
	s_mov_b64 s[54:55], 0
	s_and_saveexec_b64 s[56:57], s[46:47]
	s_cbranch_execz .LBB22_42
; %bb.41:                               ;   in Loop: Header=BB22_40 Depth=3
	v_lshl_add_u64 v[46:47], v[14:15], 3, v[24:25]
	global_load_dword v19, v[46:47], off
	v_add_u32_e32 v46, v43, v20
	v_ashrrev_i32_e32 v47, 31, v46
	v_lshl_add_u64 v[46:47], v[46:47], 1, s[36:37]
	global_load_ushort v35, v[46:47], off
	s_waitcnt vmcnt(1)
	v_cmp_eq_u32_e64 s[6:7], v12, v19
	s_and_b64 s[54:55], s[6:7], exec
.LBB22_42:                              ;   in Loop: Header=BB22_40 Depth=3
	s_or_b64 exec, exec, s[56:57]
	s_mov_b64 s[56:57], 0
	s_mov_b64 s[58:59], 0
	s_and_saveexec_b64 s[60:61], s[48:49]
	s_cbranch_execnz .LBB22_45
; %bb.43:                               ;   in Loop: Header=BB22_40 Depth=3
	s_or_b64 exec, exec, s[60:61]
	v_lshl_add_u64 v[22:23], v[10:11], 3, v[22:23]
	s_and_saveexec_b64 s[60:61], s[50:51]
	s_cbranch_execnz .LBB22_46
.LBB22_44:                              ;   in Loop: Header=BB22_40 Depth=3
	s_or_b64 exec, exec, s[60:61]
	s_mov_b64 s[6:7], 0
	s_and_saveexec_b64 s[60:61], s[8:9]
	s_cbranch_execz .LBB22_39
	s_branch .LBB22_47
.LBB22_45:                              ;   in Loop: Header=BB22_40 Depth=3
	v_lshl_add_u64 v[24:25], v[16:17], 3, v[24:25]
	global_load_dword v19, v[24:25], off
	v_add_u32_e32 v24, v42, v20
	v_ashrrev_i32_e32 v25, 31, v24
	v_lshl_add_u64 v[24:25], v[24:25], 1, s[36:37]
	global_load_ushort v34, v[24:25], off
	s_waitcnt vmcnt(1)
	v_cmp_eq_u32_e64 s[6:7], v12, v19
	s_and_b64 s[58:59], s[6:7], exec
	s_or_b64 exec, exec, s[60:61]
	v_lshl_add_u64 v[22:23], v[10:11], 3, v[22:23]
	s_and_saveexec_b64 s[60:61], s[50:51]
	s_cbranch_execz .LBB22_44
.LBB22_46:                              ;   in Loop: Header=BB22_40 Depth=3
	v_lshl_add_u64 v[24:25], v[14:15], 3, v[22:23]
	global_load_dword v19, v[24:25], off
	v_add_u32_e32 v24, v41, v20
	v_ashrrev_i32_e32 v25, 31, v24
	v_lshl_add_u64 v[24:25], v[24:25], 1, s[36:37]
	global_load_ushort v33, v[24:25], off
	s_waitcnt vmcnt(1)
	v_cmp_eq_u32_e64 s[6:7], v12, v19
	s_and_b64 s[56:57], s[6:7], exec
	s_or_b64 exec, exec, s[60:61]
	s_mov_b64 s[6:7], 0
	s_and_saveexec_b64 s[60:61], s[8:9]
	s_cbranch_execz .LBB22_39
.LBB22_47:                              ;   in Loop: Header=BB22_40 Depth=3
	v_lshl_add_u64 v[22:23], v[16:17], 3, v[22:23]
	global_load_dword v19, v[22:23], off
	v_add_u32_e32 v22, v13, v20
	v_ashrrev_i32_e32 v23, 31, v22
	v_lshl_add_u64 v[22:23], v[22:23], 1, s[36:37]
	global_load_ushort v32, v[22:23], off
	s_waitcnt vmcnt(1)
	v_cmp_eq_u32_e64 s[6:7], v12, v19
	s_and_b64 s[6:7], s[6:7], exec
	s_branch .LBB22_39
.LBB22_48:                              ;   in Loop: Header=BB22_19 Depth=2
	s_or_b64 exec, exec, s[52:53]
.LBB22_49:                              ;   in Loop: Header=BB22_19 Depth=2
	s_or_b64 exec, exec, s[44:45]
	s_or_b64 exec, exec, s[42:43]
	s_and_saveexec_b64 s[8:9], s[0:1]
	s_cbranch_execz .LBB22_52
.LBB22_50:                              ;   in Loop: Header=BB22_19 Depth=2
	v_ashrrev_i32_e32 v13, 31, v12
	v_mul_lo_u32 v14, s29, v12
	v_mul_lo_u32 v15, s28, v13
	v_mad_u64_u32 v[12:13], s[6:7], s28, v12, 0
	v_add3_u32 v13, v13, v15, v14
	v_lshl_add_u64 v[12:13], v[12:13], 1, s[30:31]
	s_mov_b64 s[42:43], 0
	v_mov_b32_e32 v18, v31
	v_mov_b32_e32 v14, v30
	v_mov_b64_e32 v[16:17], v[4:5]
.LBB22_51:                              ;   Parent Loop BB22_13 Depth=1
                                        ;     Parent Loop BB22_19 Depth=2
                                        ; =>    This Inner Loop Header: Depth=3
	ds_read_b32 v19, v18
	v_ashrrev_i32_e32 v15, 31, v14
	v_cmp_le_i64_e64 s[6:7], s[28:29], v[14:15]
	v_lshl_add_u64 v[20:21], v[16:17], 1, v[12:13]
	ds_write_b32 v18, v27
	s_waitcnt lgkmcnt(1)
	v_cvt_f16_f32_e32 v19, v19
	v_add_u32_e32 v18, s25, v18
	v_mov_b64_e32 v[16:17], v[14:15]
	v_add_u32_e32 v14, s67, v14
	s_or_b64 s[42:43], s[6:7], s[42:43]
	global_store_short v[20:21], v19, off
	s_andn2_b64 exec, exec, s[42:43]
	s_cbranch_execnz .LBB22_51
.LBB22_52:                              ;   in Loop: Header=BB22_19 Depth=2
	s_or_b64 exec, exec, s[8:9]
                                        ; implicit-def: $vgpr24
                                        ; implicit-def: $vgpr12
.LBB22_53:                              ;   in Loop: Header=BB22_19 Depth=2
	s_andn2_saveexec_b64 s[8:9], s[40:41]
	s_cbranch_execz .LBB22_18
; %bb.54:                               ;   in Loop: Header=BB22_19 Depth=2
	s_and_saveexec_b64 s[40:41], s[0:1]
	s_cbranch_execz .LBB22_17
; %bb.55:                               ;   in Loop: Header=BB22_19 Depth=2
	v_mul_lo_u32 v18, v24, s24
	v_ashrrev_i32_e32 v19, 31, v18
	v_ashrrev_i32_e32 v13, 31, v12
	v_lshl_add_u64 v[14:15], v[18:19], 3, v[8:9]
	v_mul_lo_u32 v19, s29, v12
	v_mul_lo_u32 v20, s28, v13
	v_mad_u64_u32 v[16:17], s[6:7], s28, v12, 0
	v_add3_u32 v17, v17, v20, v19
	v_lshl_add_u64 v[16:17], v[16:17], 1, s[30:31]
	v_add_u32_e32 v24, v18, v6
	s_mov_b64 s[42:43], 0
	v_mov_b32_e32 v18, v30
	v_mov_b32_e32 v20, v29
	v_mov_b64_e32 v[22:23], v[4:5]
	s_branch .LBB22_57
.LBB22_56:                              ;   in Loop: Header=BB22_57 Depth=3
	s_or_b64 exec, exec, s[44:45]
	v_ashrrev_i32_e32 v19, 31, v18
	v_cmp_le_i64_e64 s[6:7], s[28:29], v[18:19]
	v_mov_b64_e32 v[22:23], v[18:19]
	v_add_u32_e32 v20, s22, v20
	s_or_b64 s[42:43], s[6:7], s[42:43]
	v_add_u32_e32 v18, s67, v18
	s_andn2_b64 exec, exec, s[42:43]
	s_cbranch_execz .LBB22_17
.LBB22_57:                              ;   Parent Loop BB22_13 Depth=1
                                        ;     Parent Loop BB22_19 Depth=2
                                        ; =>    This Inner Loop Header: Depth=3
	v_ashrrev_i32_e32 v21, 31, v20
	v_lshl_add_u64 v[42:43], v[20:21], 3, v[14:15]
	global_load_dwordx2 v[42:43], v[42:43], off
	s_waitcnt vmcnt(0)
	v_cmp_eq_u64_e64 s[6:7], v[42:43], v[12:13]
	s_and_saveexec_b64 s[44:45], s[6:7]
	s_cbranch_execz .LBB22_56
; %bb.58:                               ;   in Loop: Header=BB22_57 Depth=3
	v_add_u32_e32 v42, v24, v20
	v_ashrrev_i32_e32 v43, 31, v42
	v_lshl_add_u64 v[42:43], v[42:43], 1, s[36:37]
	global_load_ushort v19, v[42:43], off
	v_lshl_add_u64 v[22:23], v[22:23], 1, v[16:17]
	s_waitcnt vmcnt(0)
	global_store_short v[22:23], v19, off
	s_branch .LBB22_56
.LBB22_59:
	s_endpgm
.LBB22_60:
                                        ; implicit-def: $sgpr6_sgpr7
	s_andn2_b64 vcc, exec, s[34:35]
	s_cbranch_vccz .LBB22_5
	s_branch .LBB22_6
.LBB22_61:
                                        ; implicit-def: $sgpr36_sgpr37
	s_andn2_b64 vcc, exec, s[34:35]
	s_cbranch_vccz .LBB22_8
	s_branch .LBB22_9
	.section	.rodata,"a",@progbits
	.p2align	6, 0x0
	.amdhsa_kernel _ZN2at6native12_GLOBAL__N_122max_pool_backward_nhwcIN3c104HalfEfEEvPKT_PKlillliiiiiiiiiiiiiiiPS5_
		.amdhsa_group_segment_fixed_size 0
		.amdhsa_private_segment_fixed_size 0
		.amdhsa_kernarg_size 376
		.amdhsa_user_sgpr_count 2
		.amdhsa_user_sgpr_dispatch_ptr 0
		.amdhsa_user_sgpr_queue_ptr 0
		.amdhsa_user_sgpr_kernarg_segment_ptr 1
		.amdhsa_user_sgpr_dispatch_id 0
		.amdhsa_user_sgpr_kernarg_preload_length 0
		.amdhsa_user_sgpr_kernarg_preload_offset 0
		.amdhsa_user_sgpr_private_segment_size 0
		.amdhsa_uses_dynamic_stack 0
		.amdhsa_enable_private_segment 0
		.amdhsa_system_sgpr_workgroup_id_x 1
		.amdhsa_system_sgpr_workgroup_id_y 1
		.amdhsa_system_sgpr_workgroup_id_z 1
		.amdhsa_system_sgpr_workgroup_info 0
		.amdhsa_system_vgpr_workitem_id 2
		.amdhsa_next_free_vgpr 48
		.amdhsa_next_free_sgpr 71
		.amdhsa_accum_offset 48
		.amdhsa_reserve_vcc 1
		.amdhsa_float_round_mode_32 0
		.amdhsa_float_round_mode_16_64 0
		.amdhsa_float_denorm_mode_32 3
		.amdhsa_float_denorm_mode_16_64 3
		.amdhsa_dx10_clamp 1
		.amdhsa_ieee_mode 1
		.amdhsa_fp16_overflow 0
		.amdhsa_tg_split 0
		.amdhsa_exception_fp_ieee_invalid_op 0
		.amdhsa_exception_fp_denorm_src 0
		.amdhsa_exception_fp_ieee_div_zero 0
		.amdhsa_exception_fp_ieee_overflow 0
		.amdhsa_exception_fp_ieee_underflow 0
		.amdhsa_exception_fp_ieee_inexact 0
		.amdhsa_exception_int_div_zero 0
	.end_amdhsa_kernel
	.section	.text._ZN2at6native12_GLOBAL__N_122max_pool_backward_nhwcIN3c104HalfEfEEvPKT_PKlillliiiiiiiiiiiiiiiPS5_,"axG",@progbits,_ZN2at6native12_GLOBAL__N_122max_pool_backward_nhwcIN3c104HalfEfEEvPKT_PKlillliiiiiiiiiiiiiiiPS5_,comdat
.Lfunc_end22:
	.size	_ZN2at6native12_GLOBAL__N_122max_pool_backward_nhwcIN3c104HalfEfEEvPKT_PKlillliiiiiiiiiiiiiiiPS5_, .Lfunc_end22-_ZN2at6native12_GLOBAL__N_122max_pool_backward_nhwcIN3c104HalfEfEEvPKT_PKlillliiiiiiiiiiiiiiiPS5_
                                        ; -- End function
	.set _ZN2at6native12_GLOBAL__N_122max_pool_backward_nhwcIN3c104HalfEfEEvPKT_PKlillliiiiiiiiiiiiiiiPS5_.num_vgpr, 48
	.set _ZN2at6native12_GLOBAL__N_122max_pool_backward_nhwcIN3c104HalfEfEEvPKT_PKlillliiiiiiiiiiiiiiiPS5_.num_agpr, 0
	.set _ZN2at6native12_GLOBAL__N_122max_pool_backward_nhwcIN3c104HalfEfEEvPKT_PKlillliiiiiiiiiiiiiiiPS5_.numbered_sgpr, 71
	.set _ZN2at6native12_GLOBAL__N_122max_pool_backward_nhwcIN3c104HalfEfEEvPKT_PKlillliiiiiiiiiiiiiiiPS5_.num_named_barrier, 0
	.set _ZN2at6native12_GLOBAL__N_122max_pool_backward_nhwcIN3c104HalfEfEEvPKT_PKlillliiiiiiiiiiiiiiiPS5_.private_seg_size, 0
	.set _ZN2at6native12_GLOBAL__N_122max_pool_backward_nhwcIN3c104HalfEfEEvPKT_PKlillliiiiiiiiiiiiiiiPS5_.uses_vcc, 1
	.set _ZN2at6native12_GLOBAL__N_122max_pool_backward_nhwcIN3c104HalfEfEEvPKT_PKlillliiiiiiiiiiiiiiiPS5_.uses_flat_scratch, 0
	.set _ZN2at6native12_GLOBAL__N_122max_pool_backward_nhwcIN3c104HalfEfEEvPKT_PKlillliiiiiiiiiiiiiiiPS5_.has_dyn_sized_stack, 0
	.set _ZN2at6native12_GLOBAL__N_122max_pool_backward_nhwcIN3c104HalfEfEEvPKT_PKlillliiiiiiiiiiiiiiiPS5_.has_recursion, 0
	.set _ZN2at6native12_GLOBAL__N_122max_pool_backward_nhwcIN3c104HalfEfEEvPKT_PKlillliiiiiiiiiiiiiiiPS5_.has_indirect_call, 0
	.section	.AMDGPU.csdata,"",@progbits
; Kernel info:
; codeLenInByte = 4224
; TotalNumSgprs: 77
; NumVgprs: 48
; NumAgprs: 0
; TotalNumVgprs: 48
; ScratchSize: 0
; MemoryBound: 0
; FloatMode: 240
; IeeeMode: 1
; LDSByteSize: 0 bytes/workgroup (compile time only)
; SGPRBlocks: 9
; VGPRBlocks: 5
; NumSGPRsForWavesPerEU: 77
; NumVGPRsForWavesPerEU: 48
; AccumOffset: 48
; Occupancy: 8
; WaveLimiterHint : 0
; COMPUTE_PGM_RSRC2:SCRATCH_EN: 0
; COMPUTE_PGM_RSRC2:USER_SGPR: 2
; COMPUTE_PGM_RSRC2:TRAP_HANDLER: 0
; COMPUTE_PGM_RSRC2:TGID_X_EN: 1
; COMPUTE_PGM_RSRC2:TGID_Y_EN: 1
; COMPUTE_PGM_RSRC2:TGID_Z_EN: 1
; COMPUTE_PGM_RSRC2:TIDIG_COMP_CNT: 2
; COMPUTE_PGM_RSRC3_GFX90A:ACCUM_OFFSET: 11
; COMPUTE_PGM_RSRC3_GFX90A:TG_SPLIT: 0
	.section	.text._ZN2at6native12_GLOBAL__N_122max_pool_backward_nchwIN3c104HalfEfiEEvPKT_PKlT1_SA_SA_SA_SA_SA_iiiiiiiiPS5_,"axG",@progbits,_ZN2at6native12_GLOBAL__N_122max_pool_backward_nchwIN3c104HalfEfiEEvPKT_PKlT1_SA_SA_SA_SA_SA_iiiiiiiiPS5_,comdat
	.globl	_ZN2at6native12_GLOBAL__N_122max_pool_backward_nchwIN3c104HalfEfiEEvPKT_PKlT1_SA_SA_SA_SA_SA_iiiiiiiiPS5_ ; -- Begin function _ZN2at6native12_GLOBAL__N_122max_pool_backward_nchwIN3c104HalfEfiEEvPKT_PKlT1_SA_SA_SA_SA_SA_iiiiiiiiPS5_
	.p2align	8
	.type	_ZN2at6native12_GLOBAL__N_122max_pool_backward_nchwIN3c104HalfEfiEEvPKT_PKlT1_SA_SA_SA_SA_SA_iiiiiiiiPS5_,@function
_ZN2at6native12_GLOBAL__N_122max_pool_backward_nchwIN3c104HalfEfiEEvPKT_PKlT1_SA_SA_SA_SA_SA_iiiiiiiiPS5_: ; @_ZN2at6native12_GLOBAL__N_122max_pool_backward_nchwIN3c104HalfEfiEEvPKT_PKlT1_SA_SA_SA_SA_SA_iiiiiiiiPS5_
; %bb.0:
	s_load_dword s5, s[0:1], 0x5c
	s_load_dwordx8 s[12:19], s[0:1], 0x10
	s_add_u32 s10, s0, 0x50
	s_addc_u32 s11, s1, 0
	v_mov_b32_e32 v1, 0
	s_waitcnt lgkmcnt(0)
	s_and_b32 s6, s5, 0xffff
	v_mov_b32_e32 v2, s2
	s_mul_i32 s28, s15, s14
	v_mad_u64_u32 v[0:1], s[8:9], s6, v2, v[0:1]
	s_ashr_i32 s29, s28, 31
	v_cmp_gt_i64_e32 vcc, s[28:29], v[0:1]
	s_and_saveexec_b64 s[8:9], vcc
	s_cbranch_execz .LBB23_23
; %bb.1:
	s_load_dwordx8 s[20:27], s[0:1], 0x30
	s_load_dword s7, s[10:11], 0x0
	s_add_i32 s2, s18, -1
	s_add_i32 s5, s19, -1
	s_mul_i32 s53, s17, s16
	s_waitcnt lgkmcnt(0)
	s_mul_i32 s2, s24, s2
	s_mul_i32 s5, s25, s5
	s_not_b32 s14, s2
	s_not_b32 s33, s5
	s_cmp_lt_i32 s3, s12
	s_cselect_b64 s[8:9], -1, 0
	s_cmp_lt_i32 s4, s13
	s_cselect_b64 s[18:19], -1, 0
	s_abs_i32 s46, s15
	v_cvt_f32_u32_e32 v2, s46
	s_abs_i32 s48, s20
	v_cvt_f32_u32_e32 v3, s48
	s_load_dwordx4 s[24:27], s[0:1], 0x0
	s_load_dwordx2 s[30:31], s[0:1], 0x48
	v_rcp_iflag_f32_e32 v2, v2
	s_sub_i32 s0, 0, s46
	s_abs_i32 s49, s21
	v_rcp_iflag_f32_e32 v5, v3
	v_mul_f32_e32 v2, 0x4f7ffffe, v2
	v_cvt_u32_f32_e32 v2, v2
	s_mul_i32 s34, s7, s6
	s_mov_b32 s35, 0
	s_ashr_i32 s47, s15, 31
	v_mul_lo_u32 v4, s0, v2
	v_mul_hi_u32 v4, v2, v4
	v_add_u32_e32 v3, v2, v4
	v_cvt_f32_u32_e32 v2, s49
	v_mul_f32_e32 v4, 0x4f7ffffe, v5
	v_cvt_u32_f32_e32 v4, v4
	s_sub_i32 s0, 0, s48
	v_rcp_iflag_f32_e32 v2, v2
	s_ashr_i32 s50, s20, 31
	v_mul_lo_u32 v5, s0, v4
	v_mul_hi_u32 v5, v4, v5
	v_mul_f32_e32 v2, 0x4f7ffffe, v2
	v_cvt_u32_f32_e32 v2, v2
	s_sub_i32 s0, 0, s49
	v_add_u32_e32 v8, v4, v5
	s_ashr_i32 s51, s21, 31
	v_mul_lo_u32 v4, s0, v2
	v_mul_hi_u32 v4, v2, v4
	s_mul_i32 s0, s3, s13
	v_add_u32_e32 v9, v2, v4
	s_add_i32 s0, s4, s0
	v_cndmask_b32_e64 v2, 0, 1, s[8:9]
	s_mul_i32 s52, s16, s0
	s_mul_i32 s54, s53, s13
	s_mov_b64 s[20:21], 0
	v_cmp_ne_u32_e64 s[0:1], 1, v2
	s_branch .LBB23_3
.LBB23_2:                               ;   in Loop: Header=BB23_3 Depth=1
	v_lshl_add_u64 v[0:1], v[0:1], 0, s[34:35]
	v_cmp_le_i64_e32 vcc, s[28:29], v[0:1]
	s_or_b64 s[20:21], vcc, s[20:21]
	s_andn2_b64 exec, exec, s[20:21]
	s_cbranch_execz .LBB23_23
.LBB23_3:                               ; =>This Loop Header: Depth=1
                                        ;     Child Loop BB23_10 Depth 2
                                        ;       Child Loop BB23_14 Depth 3
                                        ;         Child Loop BB23_18 Depth 4
                                        ;           Child Loop BB23_21 Depth 5
	v_sub_u32_e32 v5, 0, v0
	v_max_i32_e32 v5, v0, v5
	v_mul_hi_u32 v6, v5, v3
	v_mul_lo_u32 v7, v6, s46
	v_sub_u32_e32 v5, v5, v7
	v_add_u32_e32 v7, 1, v6
	v_cmp_le_u32_e32 vcc, s46, v5
	v_ashrrev_i32_e32 v2, 31, v0
	v_xor_b32_e32 v4, s47, v2
	v_cndmask_b32_e32 v6, v6, v7, vcc
	v_subrev_u32_e32 v7, s46, v5
	v_cndmask_b32_e32 v5, v5, v7, vcc
	v_add_u32_e32 v7, 1, v6
	v_cmp_le_u32_e32 vcc, s46, v5
	v_mov_b32_e32 v2, 0
	v_mov_b32_e32 v10, 0
	v_cndmask_b32_e32 v5, v6, v7, vcc
	v_xor_b32_e32 v5, v5, v4
	v_sub_u32_e32 v5, v5, v4
	v_add_u32_e32 v4, s22, v5
	v_cmp_lt_i32_e32 vcc, s2, v4
	s_and_saveexec_b64 s[6:7], vcc
	s_cbranch_execz .LBB23_5
; %bb.4:                                ;   in Loop: Header=BB23_3 Depth=1
	v_add_u32_e32 v6, s14, v4
	v_sub_u32_e32 v10, 0, v6
	v_ashrrev_i32_e32 v7, 31, v6
	v_max_i32_e32 v6, v6, v10
	v_mul_hi_u32 v10, v6, v8
	v_mul_lo_u32 v11, v10, s48
	v_sub_u32_e32 v6, v6, v11
	v_add_u32_e32 v11, 1, v10
	v_cmp_le_u32_e32 vcc, s48, v6
	v_xor_b32_e32 v7, s50, v7
	s_nop 0
	v_cndmask_b32_e32 v10, v10, v11, vcc
	v_subrev_u32_e32 v11, s48, v6
	v_cndmask_b32_e32 v6, v6, v11, vcc
	v_add_u32_e32 v11, 1, v10
	v_cmp_le_u32_e32 vcc, s48, v6
	s_nop 1
	v_cndmask_b32_e32 v6, v10, v11, vcc
	v_xor_b32_e32 v6, v6, v7
	v_sub_u32_e32 v6, v6, v7
	v_add_u32_e32 v10, 1, v6
.LBB23_5:                               ;   in Loop: Header=BB23_3 Depth=1
	s_or_b64 exec, exec, s[6:7]
	v_mul_lo_u32 v5, v5, s15
	v_sub_u32_e32 v5, v0, v5
	v_add_u32_e32 v5, s23, v5
	v_cmp_lt_i32_e32 vcc, s5, v5
	s_and_saveexec_b64 s[6:7], vcc
	s_cbranch_execz .LBB23_7
; %bb.6:                                ;   in Loop: Header=BB23_3 Depth=1
	v_add_u32_e32 v2, s33, v5
	v_sub_u32_e32 v7, 0, v2
	v_ashrrev_i32_e32 v6, 31, v2
	v_max_i32_e32 v2, v2, v7
	v_mul_hi_u32 v7, v2, v9
	v_mul_lo_u32 v11, v7, s49
	v_sub_u32_e32 v2, v2, v11
	v_add_u32_e32 v11, 1, v7
	v_cmp_le_u32_e32 vcc, s49, v2
	v_xor_b32_e32 v6, s51, v6
	s_nop 0
	v_cndmask_b32_e32 v7, v7, v11, vcc
	v_subrev_u32_e32 v11, s49, v2
	v_cndmask_b32_e32 v2, v2, v11, vcc
	v_add_u32_e32 v11, 1, v7
	v_cmp_le_u32_e32 vcc, s49, v2
	s_nop 1
	v_cndmask_b32_e32 v2, v7, v11, vcc
	v_xor_b32_e32 v2, v2, v6
	v_sub_u32_e32 v2, v2, v6
	v_add_u32_e32 v2, 1, v2
.LBB23_7:                               ;   in Loop: Header=BB23_3 Depth=1
	s_or_b64 exec, exec, s[6:7]
	s_and_b64 vcc, exec, s[0:1]
	s_cbranch_vccnz .LBB23_2
; %bb.8:                                ;   in Loop: Header=BB23_3 Depth=1
	v_sub_u32_e32 v7, 0, v5
	v_ashrrev_i32_e32 v6, 31, v5
	v_max_i32_e32 v5, v5, v7
	v_mul_hi_u32 v7, v5, v9
	v_mul_lo_u32 v11, v7, s49
	v_sub_u32_e32 v5, v5, v11
	v_add_u32_e32 v11, 1, v7
	v_cmp_le_u32_e32 vcc, s49, v5
	v_xor_b32_e32 v6, s51, v6
	s_load_dword s55, s[10:11], 0x4
	v_cndmask_b32_e32 v7, v7, v11, vcc
	v_subrev_u32_e32 v11, s49, v5
	v_cndmask_b32_e32 v5, v5, v11, vcc
	v_add_u32_e32 v11, 1, v7
	v_cmp_le_u32_e32 vcc, s49, v5
	s_waitcnt lgkmcnt(0)
	s_mul_i32 s56, s54, s55
	s_mov_b32 s57, s3
	v_cndmask_b32_e32 v5, v7, v11, vcc
	v_xor_b32_e32 v5, v5, v6
	v_sub_u32_e32 v5, v5, v6
	v_add_u32_e32 v5, 1, v5
	v_sub_u32_e32 v6, 0, v4
	v_min_i32_e32 v11, s17, v5
	v_ashrrev_i32_e32 v5, 31, v4
	v_max_i32_e32 v4, v4, v6
	v_mul_hi_u32 v6, v4, v8
	v_mul_lo_u32 v7, v6, s48
	v_sub_u32_e32 v4, v4, v7
	v_add_u32_e32 v7, 1, v6
	v_cmp_le_u32_e32 vcc, s48, v4
	v_xor_b32_e32 v5, s50, v5
	v_cmp_lt_i32_e64 s[6:7], v2, v11
	v_cndmask_b32_e32 v6, v6, v7, vcc
	v_subrev_u32_e32 v7, s48, v4
	v_cndmask_b32_e32 v4, v4, v7, vcc
	v_add_u32_e32 v7, 1, v6
	v_cmp_le_u32_e32 vcc, s48, v4
	s_nop 1
	v_cndmask_b32_e32 v4, v6, v7, vcc
	v_xor_b32_e32 v4, v4, v5
	v_sub_u32_e32 v4, v4, v5
	v_add_u32_e32 v4, 1, v4
	v_min_i32_e32 v12, s16, v4
	v_add_u32_e32 v4, s52, v10
	v_cmp_lt_i32_e64 s[8:9], v10, v12
	v_mad_u64_u32 v[4:5], s[36:37], s17, v4, v[2:3]
	s_branch .LBB23_10
.LBB23_9:                               ;   in Loop: Header=BB23_10 Depth=2
	s_add_i32 s57, s55, s57
	s_cmp_ge_i32 s57, s12
	v_add_u32_e32 v4, s56, v4
	s_cbranch_scc1 .LBB23_2
.LBB23_10:                              ;   Parent Loop BB23_3 Depth=1
                                        ; =>  This Loop Header: Depth=2
                                        ;       Child Loop BB23_14 Depth 3
                                        ;         Child Loop BB23_18 Depth 4
                                        ;           Child Loop BB23_21 Depth 5
	s_andn2_b64 vcc, exec, s[18:19]
	s_cbranch_vccnz .LBB23_9
; %bb.11:                               ;   in Loop: Header=BB23_10 Depth=2
	s_load_dword s58, s[10:11], 0x8
	s_mul_i32 s59, s57, s13
	v_mov_b32_e32 v5, v4
	s_mov_b32 s61, s4
	s_waitcnt lgkmcnt(0)
	s_mul_i32 s60, s53, s58
	s_branch .LBB23_14
.LBB23_12:                              ;   in Loop: Header=BB23_14 Depth=3
	s_or_b64 exec, exec, s[38:39]
	v_cvt_f16_f32_e32 v6, v13
.LBB23_13:                              ;   in Loop: Header=BB23_14 Depth=3
	s_or_b64 exec, exec, s[36:37]
	s_add_i32 s36, s61, s59
	s_mul_i32 s36, s28, s36
	v_add_u32_e32 v14, s36, v0
	v_ashrrev_i32_e32 v15, 31, v14
	s_add_i32 s61, s58, s61
	v_lshl_add_u64 v[14:15], v[14:15], 1, s[30:31]
	s_cmp_ge_i32 s61, s13
	v_add_u32_e32 v5, s60, v5
	global_store_short v[14:15], v6, off
	s_cbranch_scc1 .LBB23_9
.LBB23_14:                              ;   Parent Loop BB23_3 Depth=1
                                        ;     Parent Loop BB23_10 Depth=2
                                        ; =>    This Loop Header: Depth=3
                                        ;         Child Loop BB23_18 Depth 4
                                        ;           Child Loop BB23_21 Depth 5
	v_mov_b32_e32 v6, 0
	s_and_saveexec_b64 s[36:37], s[8:9]
	s_cbranch_execz .LBB23_13
; %bb.15:                               ;   in Loop: Header=BB23_14 Depth=3
	v_mov_b32_e32 v13, 0
	s_mov_b64 s[38:39], 0
	v_mov_b32_e32 v14, v5
	v_mov_b32_e32 v15, v10
	s_branch .LBB23_18
.LBB23_16:                              ;   in Loop: Header=BB23_18 Depth=4
	s_or_b64 exec, exec, s[42:43]
.LBB23_17:                              ;   in Loop: Header=BB23_18 Depth=4
	s_or_b64 exec, exec, s[40:41]
	v_add_u32_e32 v15, 1, v15
	v_cmp_ge_i32_e32 vcc, v15, v12
	s_or_b64 s[38:39], vcc, s[38:39]
	v_add_u32_e32 v14, s17, v14
	s_andn2_b64 exec, exec, s[38:39]
	s_cbranch_execz .LBB23_12
.LBB23_18:                              ;   Parent Loop BB23_3 Depth=1
                                        ;     Parent Loop BB23_10 Depth=2
                                        ;       Parent Loop BB23_14 Depth=3
                                        ; =>      This Loop Header: Depth=4
                                        ;           Child Loop BB23_21 Depth 5
	s_and_saveexec_b64 s[40:41], s[6:7]
	s_cbranch_execz .LBB23_17
; %bb.19:                               ;   in Loop: Header=BB23_18 Depth=4
	s_mov_b64 s[42:43], 0
	v_mov_b32_e32 v6, v14
	v_mov_b32_e32 v16, v2
	s_branch .LBB23_21
.LBB23_20:                              ;   in Loop: Header=BB23_21 Depth=5
	s_or_b64 exec, exec, s[44:45]
	v_add_u32_e32 v16, 1, v16
	v_cmp_ge_i32_e32 vcc, v16, v11
	s_or_b64 s[42:43], vcc, s[42:43]
	v_add_u32_e32 v6, 1, v6
	s_andn2_b64 exec, exec, s[42:43]
	s_cbranch_execz .LBB23_16
.LBB23_21:                              ;   Parent Loop BB23_3 Depth=1
                                        ;     Parent Loop BB23_10 Depth=2
                                        ;       Parent Loop BB23_14 Depth=3
                                        ;         Parent Loop BB23_18 Depth=4
                                        ; =>        This Inner Loop Header: Depth=5
	v_ashrrev_i32_e32 v7, 31, v6
	v_lshl_add_u64 v[18:19], v[6:7], 3, s[26:27]
	global_load_dwordx2 v[18:19], v[18:19], off
	s_waitcnt vmcnt(0)
	v_cmp_eq_u64_e32 vcc, v[18:19], v[0:1]
	s_and_saveexec_b64 s[44:45], vcc
	s_cbranch_execz .LBB23_20
; %bb.22:                               ;   in Loop: Header=BB23_21 Depth=5
	v_lshl_add_u64 v[18:19], v[6:7], 1, s[24:25]
	global_load_ushort v7, v[18:19], off
	s_waitcnt vmcnt(0)
	v_cvt_f32_f16_e32 v7, v7
	v_add_f32_e32 v13, v13, v7
	s_branch .LBB23_20
.LBB23_23:
	s_endpgm
	.section	.rodata,"a",@progbits
	.p2align	6, 0x0
	.amdhsa_kernel _ZN2at6native12_GLOBAL__N_122max_pool_backward_nchwIN3c104HalfEfiEEvPKT_PKlT1_SA_SA_SA_SA_SA_iiiiiiiiPS5_
		.amdhsa_group_segment_fixed_size 0
		.amdhsa_private_segment_fixed_size 0
		.amdhsa_kernarg_size 336
		.amdhsa_user_sgpr_count 2
		.amdhsa_user_sgpr_dispatch_ptr 0
		.amdhsa_user_sgpr_queue_ptr 0
		.amdhsa_user_sgpr_kernarg_segment_ptr 1
		.amdhsa_user_sgpr_dispatch_id 0
		.amdhsa_user_sgpr_kernarg_preload_length 0
		.amdhsa_user_sgpr_kernarg_preload_offset 0
		.amdhsa_user_sgpr_private_segment_size 0
		.amdhsa_uses_dynamic_stack 0
		.amdhsa_enable_private_segment 0
		.amdhsa_system_sgpr_workgroup_id_x 1
		.amdhsa_system_sgpr_workgroup_id_y 1
		.amdhsa_system_sgpr_workgroup_id_z 1
		.amdhsa_system_sgpr_workgroup_info 0
		.amdhsa_system_vgpr_workitem_id 0
		.amdhsa_next_free_vgpr 20
		.amdhsa_next_free_sgpr 62
		.amdhsa_accum_offset 20
		.amdhsa_reserve_vcc 1
		.amdhsa_float_round_mode_32 0
		.amdhsa_float_round_mode_16_64 0
		.amdhsa_float_denorm_mode_32 3
		.amdhsa_float_denorm_mode_16_64 3
		.amdhsa_dx10_clamp 1
		.amdhsa_ieee_mode 1
		.amdhsa_fp16_overflow 0
		.amdhsa_tg_split 0
		.amdhsa_exception_fp_ieee_invalid_op 0
		.amdhsa_exception_fp_denorm_src 0
		.amdhsa_exception_fp_ieee_div_zero 0
		.amdhsa_exception_fp_ieee_overflow 0
		.amdhsa_exception_fp_ieee_underflow 0
		.amdhsa_exception_fp_ieee_inexact 0
		.amdhsa_exception_int_div_zero 0
	.end_amdhsa_kernel
	.section	.text._ZN2at6native12_GLOBAL__N_122max_pool_backward_nchwIN3c104HalfEfiEEvPKT_PKlT1_SA_SA_SA_SA_SA_iiiiiiiiPS5_,"axG",@progbits,_ZN2at6native12_GLOBAL__N_122max_pool_backward_nchwIN3c104HalfEfiEEvPKT_PKlT1_SA_SA_SA_SA_SA_iiiiiiiiPS5_,comdat
.Lfunc_end23:
	.size	_ZN2at6native12_GLOBAL__N_122max_pool_backward_nchwIN3c104HalfEfiEEvPKT_PKlT1_SA_SA_SA_SA_SA_iiiiiiiiPS5_, .Lfunc_end23-_ZN2at6native12_GLOBAL__N_122max_pool_backward_nchwIN3c104HalfEfiEEvPKT_PKlT1_SA_SA_SA_SA_SA_iiiiiiiiPS5_
                                        ; -- End function
	.set _ZN2at6native12_GLOBAL__N_122max_pool_backward_nchwIN3c104HalfEfiEEvPKT_PKlT1_SA_SA_SA_SA_SA_iiiiiiiiPS5_.num_vgpr, 20
	.set _ZN2at6native12_GLOBAL__N_122max_pool_backward_nchwIN3c104HalfEfiEEvPKT_PKlT1_SA_SA_SA_SA_SA_iiiiiiiiPS5_.num_agpr, 0
	.set _ZN2at6native12_GLOBAL__N_122max_pool_backward_nchwIN3c104HalfEfiEEvPKT_PKlT1_SA_SA_SA_SA_SA_iiiiiiiiPS5_.numbered_sgpr, 62
	.set _ZN2at6native12_GLOBAL__N_122max_pool_backward_nchwIN3c104HalfEfiEEvPKT_PKlT1_SA_SA_SA_SA_SA_iiiiiiiiPS5_.num_named_barrier, 0
	.set _ZN2at6native12_GLOBAL__N_122max_pool_backward_nchwIN3c104HalfEfiEEvPKT_PKlT1_SA_SA_SA_SA_SA_iiiiiiiiPS5_.private_seg_size, 0
	.set _ZN2at6native12_GLOBAL__N_122max_pool_backward_nchwIN3c104HalfEfiEEvPKT_PKlT1_SA_SA_SA_SA_SA_iiiiiiiiPS5_.uses_vcc, 1
	.set _ZN2at6native12_GLOBAL__N_122max_pool_backward_nchwIN3c104HalfEfiEEvPKT_PKlT1_SA_SA_SA_SA_SA_iiiiiiiiPS5_.uses_flat_scratch, 0
	.set _ZN2at6native12_GLOBAL__N_122max_pool_backward_nchwIN3c104HalfEfiEEvPKT_PKlT1_SA_SA_SA_SA_SA_iiiiiiiiPS5_.has_dyn_sized_stack, 0
	.set _ZN2at6native12_GLOBAL__N_122max_pool_backward_nchwIN3c104HalfEfiEEvPKT_PKlT1_SA_SA_SA_SA_SA_iiiiiiiiPS5_.has_recursion, 0
	.set _ZN2at6native12_GLOBAL__N_122max_pool_backward_nchwIN3c104HalfEfiEEvPKT_PKlT1_SA_SA_SA_SA_SA_iiiiiiiiPS5_.has_indirect_call, 0
	.section	.AMDGPU.csdata,"",@progbits
; Kernel info:
; codeLenInByte = 1240
; TotalNumSgprs: 68
; NumVgprs: 20
; NumAgprs: 0
; TotalNumVgprs: 20
; ScratchSize: 0
; MemoryBound: 0
; FloatMode: 240
; IeeeMode: 1
; LDSByteSize: 0 bytes/workgroup (compile time only)
; SGPRBlocks: 8
; VGPRBlocks: 2
; NumSGPRsForWavesPerEU: 68
; NumVGPRsForWavesPerEU: 20
; AccumOffset: 20
; Occupancy: 8
; WaveLimiterHint : 0
; COMPUTE_PGM_RSRC2:SCRATCH_EN: 0
; COMPUTE_PGM_RSRC2:USER_SGPR: 2
; COMPUTE_PGM_RSRC2:TRAP_HANDLER: 0
; COMPUTE_PGM_RSRC2:TGID_X_EN: 1
; COMPUTE_PGM_RSRC2:TGID_Y_EN: 1
; COMPUTE_PGM_RSRC2:TGID_Z_EN: 1
; COMPUTE_PGM_RSRC2:TIDIG_COMP_CNT: 0
; COMPUTE_PGM_RSRC3_GFX90A:ACCUM_OFFSET: 4
; COMPUTE_PGM_RSRC3_GFX90A:TG_SPLIT: 0
	.section	.text._ZN2at6native12_GLOBAL__N_122max_pool_backward_nchwIN3c104HalfEflEEvPKT_PKlT1_SA_SA_SA_SA_SA_iiiiiiiiPS5_,"axG",@progbits,_ZN2at6native12_GLOBAL__N_122max_pool_backward_nchwIN3c104HalfEflEEvPKT_PKlT1_SA_SA_SA_SA_SA_iiiiiiiiPS5_,comdat
	.globl	_ZN2at6native12_GLOBAL__N_122max_pool_backward_nchwIN3c104HalfEflEEvPKT_PKlT1_SA_SA_SA_SA_SA_iiiiiiiiPS5_ ; -- Begin function _ZN2at6native12_GLOBAL__N_122max_pool_backward_nchwIN3c104HalfEflEEvPKT_PKlT1_SA_SA_SA_SA_SA_iiiiiiiiPS5_
	.p2align	8
	.type	_ZN2at6native12_GLOBAL__N_122max_pool_backward_nchwIN3c104HalfEflEEvPKT_PKlT1_SA_SA_SA_SA_SA_iiiiiiiiPS5_,@function
_ZN2at6native12_GLOBAL__N_122max_pool_backward_nchwIN3c104HalfEflEEvPKT_PKlT1_SA_SA_SA_SA_SA_iiiiiiiiPS5_: ; @_ZN2at6native12_GLOBAL__N_122max_pool_backward_nchwIN3c104HalfEflEEvPKT_PKlT1_SA_SA_SA_SA_SA_iiiiiiiiPS5_
; %bb.0:
	s_mov_b32 s10, s3
	s_load_dword s3, s[0:1], 0x74
	s_load_dwordx16 s[12:27], s[0:1], 0x0
	s_add_u32 s28, s0, 0x68
	v_mov_b32_e32 v2, 0
	s_addc_u32 s29, s1, 0
	s_waitcnt lgkmcnt(0)
	s_and_b32 s6, s3, 0xffff
	v_mov_b32_e32 v1, v2
	v_mov_b32_e32 v3, s2
	v_mad_u64_u32 v[0:1], s[2:3], s6, v3, v[0:1]
	s_mul_i32 s2, s22, s21
	s_mul_hi_u32 s3, s22, s20
	s_add_i32 s2, s3, s2
	s_mul_i32 s3, s23, s20
	s_add_i32 s21, s2, s3
	s_mul_i32 s20, s22, s20
	v_cmp_gt_i64_e32 vcc, s[20:21], v[0:1]
	s_and_saveexec_b64 s[2:3], vcc
	s_cbranch_execz .LBB24_43
; %bb.1:
	s_load_dwordx8 s[40:47], s[0:1], 0x40
	s_load_dwordx2 s[30:31], s[0:1], 0x60
	s_load_dword s7, s[28:29], 0x0
	v_cvt_f32_u32_e32 v3, s22
	s_mov_b32 s11, 0
	s_waitcnt lgkmcnt(0)
	s_add_i32 s0, s40, -1
	s_mul_i32 s0, s46, s0
	s_add_i32 s36, s0, 1
	s_add_i32 s0, s41, -1
	s_mul_i32 s0, s47, s0
	s_ashr_i32 s33, s42, 31
	s_mov_b32 s82, s42
	s_add_i32 s38, s0, 1
	s_mul_i32 s42, s7, s6
	s_mul_i32 s6, s19, s10
	s_mul_hi_u32 s7, s18, s10
	s_ashr_i32 s35, s44, 31
	s_ashr_i32 s37, s36, 31
	s_ashr_i32 s39, s38, 31
	s_ashr_i32 s41, s45, 31
	s_ashr_i32 s83, s43, 31
	s_add_i32 s7, s7, s6
	s_mul_i32 s6, s18, s10
	s_add_u32 s6, s6, s4
	s_addc_u32 s7, s7, 0
	s_mul_i32 s7, s24, s7
	s_mul_hi_u32 s8, s24, s6
	v_rcp_iflag_f32_e32 v3, v3
	s_add_i32 s7, s8, s7
	s_mul_i32 s8, s25, s6
	s_mov_b32 s34, s44
	s_mov_b32 s40, s45
	s_add_i32 s45, s7, s8
	s_mul_i32 s44, s24, s6
	s_mul_i32 s6, s26, s25
	s_mul_hi_u32 s7, s26, s24
	s_add_i32 s6, s7, s6
	s_mul_i32 s7, s27, s24
	s_add_i32 s7, s6, s7
	s_mul_i32 s6, s26, s24
	v_mul_f32_e32 v3, 0x4f7ffffe, v3
	s_mul_i32 s8, s6, s19
	s_mul_hi_u32 s9, s6, s18
	v_cvt_u32_f32_e32 v34, v3
	v_mov_b64_e32 v[4:5], s[10:11]
	s_mov_b32 s5, s11
	s_add_i32 s8, s9, s8
	s_mul_i32 s9, s7, s18
	v_cmp_gt_i64_e64 s[0:1], s[16:17], v[4:5]
	v_mov_b64_e32 v[4:5], s[4:5]
	s_add_i32 s9, s8, s9
	s_mul_i32 s8, s6, s18
	s_mov_b32 s84, s43
	v_cmp_gt_i64_e64 s[2:3], s[18:19], v[4:5]
	s_mov_b32 s43, s11
	s_lshl_b64 s[46:47], s[8:9], 3
	s_lshl_b64 s[48:49], s[6:7], 3
	;; [unrolled: 1-line block ×6, first 2 shown]
	s_mov_b64 s[58:59], 0
	s_branch .LBB24_3
.LBB24_2:                               ;   in Loop: Header=BB24_3 Depth=1
	v_lshl_add_u64 v[0:1], v[0:1], 0, s[42:43]
	v_cmp_le_i64_e32 vcc, s[20:21], v[0:1]
	s_or_b64 s[58:59], vcc, s[58:59]
	s_andn2_b64 exec, exec, s[58:59]
	s_cbranch_execz .LBB24_43
.LBB24_3:                               ; =>This Loop Header: Depth=1
                                        ;     Child Loop BB24_30 Depth 2
                                        ;       Child Loop BB24_34 Depth 3
                                        ;         Child Loop BB24_38 Depth 4
                                        ;           Child Loop BB24_41 Depth 5
	v_or_b32_e32 v3, s23, v1
	v_cmp_ne_u64_e32 vcc, 0, v[2:3]
                                        ; implicit-def: $vgpr8_vgpr9
	s_and_saveexec_b64 s[6:7], vcc
	s_xor_b64 s[8:9], exec, s[6:7]
	s_cbranch_execz .LBB24_5
; %bb.4:                                ;   in Loop: Header=BB24_3 Depth=1
	s_ashr_i32 s60, s23, 31
	s_add_u32 s6, s22, s60
	s_mov_b32 s61, s60
	s_addc_u32 s7, s23, s60
	s_xor_b64 s[62:63], s[6:7], s[60:61]
	v_cvt_f32_u32_e32 v3, s62
	v_cvt_f32_u32_e32 v4, s63
	s_sub_u32 s61, 0, s62
	s_subb_u32 s64, 0, s63
	v_mov_b32_e32 v9, v2
	v_fmac_f32_e32 v3, 0x4f800000, v4
	v_rcp_f32_e32 v3, v3
	s_nop 0
	v_mul_f32_e32 v3, 0x5f7ffffc, v3
	v_mul_f32_e32 v4, 0x2f800000, v3
	v_trunc_f32_e32 v4, v4
	v_fmac_f32_e32 v3, 0xcf800000, v4
	v_cvt_u32_f32_e32 v4, v4
	v_cvt_u32_f32_e32 v3, v3
	v_readfirstlane_b32 s65, v4
	v_readfirstlane_b32 s6, v3
	s_mul_i32 s7, s61, s65
	s_mul_hi_u32 s67, s61, s6
	s_mul_i32 s66, s64, s6
	s_add_i32 s7, s67, s7
	s_add_i32 s7, s7, s66
	s_mul_i32 s68, s61, s6
	s_mul_i32 s67, s6, s7
	s_mul_hi_u32 s69, s6, s68
	s_mul_hi_u32 s66, s6, s7
	s_add_u32 s67, s69, s67
	s_addc_u32 s66, 0, s66
	s_mul_hi_u32 s70, s65, s68
	s_mul_i32 s68, s65, s68
	s_add_u32 s67, s67, s68
	s_mul_hi_u32 s69, s65, s7
	s_addc_u32 s66, s66, s70
	s_addc_u32 s67, s69, 0
	s_mul_i32 s7, s65, s7
	s_add_u32 s7, s66, s7
	s_addc_u32 s66, 0, s67
	s_add_u32 s67, s6, s7
	s_cselect_b64 s[6:7], -1, 0
	s_cmp_lg_u64 s[6:7], 0
	s_addc_u32 s65, s65, s66
	s_mul_i32 s6, s61, s65
	s_mul_hi_u32 s7, s61, s67
	s_add_i32 s6, s7, s6
	s_mul_i32 s64, s64, s67
	s_add_i32 s6, s6, s64
	s_mul_i32 s61, s61, s67
	s_mul_hi_u32 s64, s65, s61
	s_mul_i32 s66, s65, s61
	s_mul_i32 s69, s67, s6
	s_mul_hi_u32 s61, s67, s61
	s_mul_hi_u32 s68, s67, s6
	s_add_u32 s61, s61, s69
	s_addc_u32 s68, 0, s68
	s_add_u32 s61, s61, s66
	s_mul_hi_u32 s7, s65, s6
	s_addc_u32 s61, s68, s64
	s_addc_u32 s7, s7, 0
	s_mul_i32 s6, s65, s6
	s_add_u32 s6, s61, s6
	s_addc_u32 s61, 0, s7
	s_add_u32 s64, s67, s6
	v_ashrrev_i32_e32 v4, 31, v1
	s_cselect_b64 s[6:7], -1, 0
	v_mov_b32_e32 v5, v4
	s_cmp_lg_u64 s[6:7], 0
	v_lshl_add_u64 v[6:7], v[0:1], 0, v[4:5]
	s_addc_u32 s61, s65, s61
	v_xor_b32_e32 v5, v6, v4
	v_xor_b32_e32 v3, v7, v4
	v_mad_u64_u32 v[6:7], s[6:7], v5, s61, 0
	v_mul_hi_u32 v8, v5, s64
	v_lshl_add_u64 v[6:7], v[8:9], 0, v[6:7]
	v_mad_u64_u32 v[10:11], s[6:7], v3, s64, 0
	v_add_co_u32_e32 v6, vcc, v6, v10
	v_mad_u64_u32 v[8:9], s[6:7], v3, s61, 0
	s_nop 0
	v_addc_co_u32_e32 v6, vcc, v7, v11, vcc
	v_mov_b32_e32 v7, v2
	s_nop 0
	v_addc_co_u32_e32 v9, vcc, 0, v9, vcc
	v_lshl_add_u64 v[6:7], v[6:7], 0, v[8:9]
	v_mul_lo_u32 v10, s63, v6
	v_mul_lo_u32 v11, s62, v7
	v_mad_u64_u32 v[8:9], s[6:7], s62, v6, 0
	v_add3_u32 v12, v9, v11, v10
	v_sub_u32_e32 v9, v3, v12
	v_mov_b32_e32 v10, s63
	v_sub_co_u32_e32 v5, vcc, v5, v8
	v_xor_b32_e32 v4, s60, v4
	s_nop 0
	v_subb_co_u32_e64 v8, s[6:7], v9, v10, vcc
	v_subrev_co_u32_e64 v9, s[6:7], s62, v5
	v_subb_co_u32_e32 v3, vcc, v3, v12, vcc
	s_nop 0
	v_subbrev_co_u32_e64 v8, s[6:7], 0, v8, s[6:7]
	v_cmp_le_u32_e64 s[6:7], s63, v8
	v_cmp_le_u32_e32 vcc, s63, v3
	s_nop 0
	v_cndmask_b32_e64 v10, 0, -1, s[6:7]
	v_cmp_le_u32_e64 s[6:7], s62, v9
	s_nop 1
	v_cndmask_b32_e64 v9, 0, -1, s[6:7]
	v_cmp_eq_u32_e64 s[6:7], s63, v8
	s_nop 1
	v_cndmask_b32_e64 v13, v10, v9, s[6:7]
	v_lshl_add_u64 v[8:9], v[6:7], 0, 2
	v_lshl_add_u64 v[10:11], v[6:7], 0, 1
	v_cmp_ne_u32_e64 s[6:7], 0, v13
	s_nop 1
	v_cndmask_b32_e64 v9, v11, v9, s[6:7]
	v_cndmask_b32_e64 v11, 0, -1, vcc
	v_cmp_le_u32_e32 vcc, s62, v5
	s_nop 1
	v_cndmask_b32_e64 v5, 0, -1, vcc
	v_cmp_eq_u32_e32 vcc, s63, v3
	s_nop 1
	v_cndmask_b32_e32 v3, v11, v5, vcc
	v_cmp_ne_u32_e32 vcc, 0, v3
	v_cndmask_b32_e64 v5, v10, v8, s[6:7]
	s_nop 0
	v_cndmask_b32_e32 v5, v6, v5, vcc
	v_cndmask_b32_e32 v3, v7, v9, vcc
	v_xor_b32_e32 v5, v5, v4
	v_xor_b32_e32 v3, v3, v4
	v_sub_co_u32_e32 v8, vcc, v5, v4
	s_nop 1
	v_subb_co_u32_e32 v9, vcc, v3, v4, vcc
.LBB24_5:                               ;   in Loop: Header=BB24_3 Depth=1
	s_andn2_saveexec_b64 s[6:7], s[8:9]
	s_cbranch_execz .LBB24_7
; %bb.6:                                ;   in Loop: Header=BB24_3 Depth=1
	s_sub_i32 s8, 0, s22
	v_mul_lo_u32 v3, s8, v34
	v_mul_hi_u32 v3, v34, v3
	v_add_u32_e32 v3, v34, v3
	v_mul_hi_u32 v3, v0, v3
	v_mul_lo_u32 v4, v3, s22
	v_sub_u32_e32 v4, v0, v4
	v_subrev_u32_e32 v5, s22, v4
	v_cmp_le_u32_e32 vcc, s22, v4
	v_mov_b32_e32 v9, v2
	s_nop 0
	v_cndmask_b32_e32 v4, v4, v5, vcc
	v_add_u32_e32 v5, 1, v3
	v_cndmask_b32_e32 v3, v3, v5, vcc
	v_add_u32_e32 v5, 1, v3
	v_cmp_le_u32_e32 vcc, s22, v4
	s_nop 1
	v_cndmask_b32_e32 v8, v3, v5, vcc
.LBB24_7:                               ;   in Loop: Header=BB24_3 Depth=1
	s_or_b64 exec, exec, s[6:7]
	v_lshl_add_u64 v[10:11], v[8:9], 0, s[34:35]
	v_cmp_le_i64_e32 vcc, s[36:37], v[10:11]
	v_mov_b64_e32 v[4:5], 0
	s_and_saveexec_b64 s[8:9], vcc
	s_cbranch_execz .LBB24_13
; %bb.8:                                ;   in Loop: Header=BB24_3 Depth=1
	v_mov_b32_e32 v3, s37
	v_subrev_co_u32_e32 v4, vcc, s36, v10
                                        ; implicit-def: $vgpr6_vgpr7
	s_nop 1
	v_subb_co_u32_e32 v5, vcc, v11, v3, vcc
	v_or_b32_e32 v3, s33, v5
	v_cmp_ne_u64_e32 vcc, 0, v[2:3]
	s_and_saveexec_b64 s[6:7], vcc
	s_xor_b64 s[60:61], exec, s[6:7]
	s_cbranch_execz .LBB24_10
; %bb.9:                                ;   in Loop: Header=BB24_3 Depth=1
	s_ashr_i32 s62, s33, 31
	s_add_u32 s6, s82, s62
	s_mov_b32 s63, s62
	s_addc_u32 s7, s33, s62
	s_xor_b64 s[64:65], s[6:7], s[62:63]
	v_cvt_f32_u32_e32 v3, s64
	v_cvt_f32_u32_e32 v6, s65
	s_sub_u32 s63, 0, s64
	s_subb_u32 s66, 0, s65
	v_mov_b32_e32 v13, v2
	v_fmac_f32_e32 v3, 0x4f800000, v6
	v_rcp_f32_e32 v3, v3
	s_nop 0
	v_mul_f32_e32 v3, 0x5f7ffffc, v3
	v_mul_f32_e32 v6, 0x2f800000, v3
	v_trunc_f32_e32 v6, v6
	v_fmac_f32_e32 v3, 0xcf800000, v6
	v_cvt_u32_f32_e32 v6, v6
	v_cvt_u32_f32_e32 v3, v3
	v_readfirstlane_b32 s67, v6
	v_readfirstlane_b32 s6, v3
	s_mul_i32 s7, s63, s67
	s_mul_hi_u32 s69, s63, s6
	s_mul_i32 s68, s66, s6
	s_add_i32 s7, s69, s7
	s_add_i32 s7, s7, s68
	s_mul_i32 s70, s63, s6
	s_mul_i32 s69, s6, s7
	s_mul_hi_u32 s71, s6, s70
	s_mul_hi_u32 s68, s6, s7
	s_add_u32 s69, s71, s69
	s_addc_u32 s68, 0, s68
	s_mul_hi_u32 s72, s67, s70
	s_mul_i32 s70, s67, s70
	s_add_u32 s69, s69, s70
	s_mul_hi_u32 s71, s67, s7
	s_addc_u32 s68, s68, s72
	s_addc_u32 s69, s71, 0
	s_mul_i32 s7, s67, s7
	s_add_u32 s7, s68, s7
	s_addc_u32 s68, 0, s69
	s_add_u32 s69, s6, s7
	s_cselect_b64 s[6:7], -1, 0
	s_cmp_lg_u64 s[6:7], 0
	s_addc_u32 s67, s67, s68
	s_mul_i32 s6, s63, s67
	s_mul_hi_u32 s7, s63, s69
	s_add_i32 s6, s7, s6
	s_mul_i32 s66, s66, s69
	s_add_i32 s6, s6, s66
	s_mul_i32 s63, s63, s69
	s_mul_hi_u32 s66, s67, s63
	s_mul_i32 s68, s67, s63
	s_mul_i32 s71, s69, s6
	s_mul_hi_u32 s63, s69, s63
	s_mul_hi_u32 s70, s69, s6
	s_add_u32 s63, s63, s71
	s_addc_u32 s70, 0, s70
	s_add_u32 s63, s63, s68
	s_mul_hi_u32 s7, s67, s6
	s_addc_u32 s63, s70, s66
	s_addc_u32 s7, s7, 0
	s_mul_i32 s6, s67, s6
	s_add_u32 s6, s63, s6
	s_addc_u32 s63, 0, s7
	s_add_u32 s66, s69, s6
	v_ashrrev_i32_e32 v6, 31, v5
	s_cselect_b64 s[6:7], -1, 0
	v_mov_b32_e32 v7, v6
	s_cmp_lg_u64 s[6:7], 0
	v_lshl_add_u64 v[4:5], v[4:5], 0, v[6:7]
	s_addc_u32 s63, s67, s63
	v_xor_b32_e32 v7, v4, v6
	v_xor_b32_e32 v3, v5, v6
	v_mad_u64_u32 v[4:5], s[6:7], v7, s63, 0
	v_mul_hi_u32 v12, v7, s66
	v_lshl_add_u64 v[4:5], v[12:13], 0, v[4:5]
	v_mad_u64_u32 v[14:15], s[6:7], v3, s66, 0
	v_add_co_u32_e32 v4, vcc, v4, v14
	v_mad_u64_u32 v[12:13], s[6:7], v3, s63, 0
	s_nop 0
	v_addc_co_u32_e32 v4, vcc, v5, v15, vcc
	v_mov_b32_e32 v5, v2
	s_nop 0
	v_addc_co_u32_e32 v13, vcc, 0, v13, vcc
	v_lshl_add_u64 v[4:5], v[4:5], 0, v[12:13]
	v_mul_lo_u32 v14, s65, v4
	v_mul_lo_u32 v15, s64, v5
	v_mad_u64_u32 v[12:13], s[6:7], s64, v4, 0
	v_add3_u32 v16, v13, v15, v14
	v_sub_u32_e32 v13, v3, v16
	v_mov_b32_e32 v14, s65
	v_sub_co_u32_e32 v7, vcc, v7, v12
	s_nop 1
	v_subb_co_u32_e64 v12, s[6:7], v13, v14, vcc
	v_subrev_co_u32_e64 v13, s[6:7], s64, v7
	v_subb_co_u32_e32 v3, vcc, v3, v16, vcc
	s_nop 0
	v_subbrev_co_u32_e64 v12, s[6:7], 0, v12, s[6:7]
	v_cmp_le_u32_e64 s[6:7], s65, v12
	v_cmp_le_u32_e32 vcc, s65, v3
	s_nop 0
	v_cndmask_b32_e64 v14, 0, -1, s[6:7]
	v_cmp_le_u32_e64 s[6:7], s64, v13
	s_nop 1
	v_cndmask_b32_e64 v13, 0, -1, s[6:7]
	v_cmp_eq_u32_e64 s[6:7], s65, v12
	s_nop 1
	v_cndmask_b32_e64 v17, v14, v13, s[6:7]
	v_lshl_add_u64 v[12:13], v[4:5], 0, 2
	v_lshl_add_u64 v[14:15], v[4:5], 0, 1
	v_cmp_ne_u32_e64 s[6:7], 0, v17
	s_nop 1
	v_cndmask_b32_e64 v13, v15, v13, s[6:7]
	v_cndmask_b32_e64 v15, 0, -1, vcc
	v_cmp_le_u32_e32 vcc, s64, v7
	s_nop 1
	v_cndmask_b32_e64 v7, 0, -1, vcc
	v_cmp_eq_u32_e32 vcc, s65, v3
	s_nop 1
	v_cndmask_b32_e32 v3, v15, v7, vcc
	v_cmp_ne_u32_e32 vcc, 0, v3
	s_nop 1
	v_cndmask_b32_e32 v3, v5, v13, vcc
	v_cndmask_b32_e64 v5, v14, v12, s[6:7]
	v_cndmask_b32_e32 v4, v4, v5, vcc
	v_xor_b32_e32 v5, s62, v6
	v_xor_b32_e32 v4, v4, v5
	;; [unrolled: 1-line block ×3, first 2 shown]
	v_sub_co_u32_e32 v6, vcc, v4, v5
                                        ; implicit-def: $vgpr4
	s_nop 1
	v_subb_co_u32_e32 v7, vcc, v3, v5, vcc
.LBB24_10:                              ;   in Loop: Header=BB24_3 Depth=1
	s_andn2_saveexec_b64 s[6:7], s[60:61]
	s_cbranch_execz .LBB24_12
; %bb.11:                               ;   in Loop: Header=BB24_3 Depth=1
	v_cvt_f32_u32_e32 v3, s82
	s_sub_i32 s60, 0, s82
	v_mov_b32_e32 v7, v2
	v_rcp_iflag_f32_e32 v3, v3
	s_nop 0
	v_mul_f32_e32 v3, 0x4f7ffffe, v3
	v_cvt_u32_f32_e32 v3, v3
	v_mul_lo_u32 v5, s60, v3
	v_mul_hi_u32 v5, v3, v5
	v_add_u32_e32 v3, v3, v5
	v_mul_hi_u32 v3, v4, v3
	v_mul_lo_u32 v5, v3, s82
	v_sub_u32_e32 v4, v4, v5
	v_add_u32_e32 v6, 1, v3
	v_subrev_u32_e32 v5, s82, v4
	v_cmp_le_u32_e32 vcc, s82, v4
	s_nop 1
	v_cndmask_b32_e32 v4, v4, v5, vcc
	v_cndmask_b32_e32 v3, v3, v6, vcc
	v_add_u32_e32 v5, 1, v3
	v_cmp_le_u32_e32 vcc, s82, v4
	s_nop 1
	v_cndmask_b32_e32 v6, v3, v5, vcc
.LBB24_12:                              ;   in Loop: Header=BB24_3 Depth=1
	s_or_b64 exec, exec, s[6:7]
	v_lshl_add_u64 v[4:5], v[6:7], 0, 1
.LBB24_13:                              ;   in Loop: Header=BB24_3 Depth=1
	s_or_b64 exec, exec, s[8:9]
	v_or_b32_e32 v3, s33, v11
	v_cmp_ne_u64_e32 vcc, 0, v[2:3]
                                        ; implicit-def: $vgpr6_vgpr7
	s_and_saveexec_b64 s[6:7], vcc
	s_xor_b64 s[8:9], exec, s[6:7]
	s_cbranch_execz .LBB24_15
; %bb.14:                               ;   in Loop: Header=BB24_3 Depth=1
	s_ashr_i32 s60, s33, 31
	s_add_u32 s6, s82, s60
	s_mov_b32 s61, s60
	s_addc_u32 s7, s33, s60
	s_xor_b64 s[62:63], s[6:7], s[60:61]
	v_cvt_f32_u32_e32 v3, s62
	v_cvt_f32_u32_e32 v6, s63
	s_sub_u32 s61, 0, s62
	s_subb_u32 s64, 0, s63
	v_mov_b32_e32 v13, v2
	v_fmac_f32_e32 v3, 0x4f800000, v6
	v_rcp_f32_e32 v3, v3
	s_nop 0
	v_mul_f32_e32 v3, 0x5f7ffffc, v3
	v_mul_f32_e32 v6, 0x2f800000, v3
	v_trunc_f32_e32 v6, v6
	v_fmac_f32_e32 v3, 0xcf800000, v6
	v_cvt_u32_f32_e32 v6, v6
	v_cvt_u32_f32_e32 v3, v3
	v_readfirstlane_b32 s65, v6
	v_readfirstlane_b32 s6, v3
	s_mul_i32 s7, s61, s65
	s_mul_hi_u32 s67, s61, s6
	s_mul_i32 s66, s64, s6
	s_add_i32 s7, s67, s7
	s_add_i32 s7, s7, s66
	s_mul_i32 s68, s61, s6
	s_mul_i32 s67, s6, s7
	s_mul_hi_u32 s69, s6, s68
	s_mul_hi_u32 s66, s6, s7
	s_add_u32 s67, s69, s67
	s_addc_u32 s66, 0, s66
	s_mul_hi_u32 s70, s65, s68
	s_mul_i32 s68, s65, s68
	s_add_u32 s67, s67, s68
	s_mul_hi_u32 s69, s65, s7
	s_addc_u32 s66, s66, s70
	s_addc_u32 s67, s69, 0
	s_mul_i32 s7, s65, s7
	s_add_u32 s7, s66, s7
	s_addc_u32 s66, 0, s67
	s_add_u32 s67, s6, s7
	s_cselect_b64 s[6:7], -1, 0
	s_cmp_lg_u64 s[6:7], 0
	s_addc_u32 s65, s65, s66
	s_mul_i32 s6, s61, s65
	s_mul_hi_u32 s7, s61, s67
	s_add_i32 s6, s7, s6
	s_mul_i32 s64, s64, s67
	s_add_i32 s6, s6, s64
	s_mul_i32 s61, s61, s67
	s_mul_hi_u32 s64, s65, s61
	s_mul_i32 s66, s65, s61
	s_mul_i32 s69, s67, s6
	s_mul_hi_u32 s61, s67, s61
	s_mul_hi_u32 s68, s67, s6
	s_add_u32 s61, s61, s69
	s_addc_u32 s68, 0, s68
	s_add_u32 s61, s61, s66
	s_mul_hi_u32 s7, s65, s6
	s_addc_u32 s61, s68, s64
	s_addc_u32 s7, s7, 0
	s_mul_i32 s6, s65, s6
	s_add_u32 s6, s61, s6
	s_addc_u32 s61, 0, s7
	s_add_u32 s64, s67, s6
	v_ashrrev_i32_e32 v6, 31, v11
	s_cselect_b64 s[6:7], -1, 0
	v_mov_b32_e32 v7, v6
	s_cmp_lg_u64 s[6:7], 0
	v_lshl_add_u64 v[10:11], v[10:11], 0, v[6:7]
	s_addc_u32 s61, s65, s61
	v_xor_b32_e32 v7, v10, v6
	v_xor_b32_e32 v3, v11, v6
	v_mad_u64_u32 v[10:11], s[6:7], v7, s61, 0
	v_mul_hi_u32 v12, v7, s64
	v_lshl_add_u64 v[10:11], v[12:13], 0, v[10:11]
	v_mad_u64_u32 v[14:15], s[6:7], v3, s64, 0
	v_add_co_u32_e32 v10, vcc, v10, v14
	v_mad_u64_u32 v[12:13], s[6:7], v3, s61, 0
	s_nop 0
	v_addc_co_u32_e32 v10, vcc, v11, v15, vcc
	v_mov_b32_e32 v11, v2
	s_nop 0
	v_addc_co_u32_e32 v13, vcc, 0, v13, vcc
	v_lshl_add_u64 v[10:11], v[10:11], 0, v[12:13]
	v_mul_lo_u32 v14, s63, v10
	v_mul_lo_u32 v15, s62, v11
	v_mad_u64_u32 v[12:13], s[6:7], s62, v10, 0
	v_add3_u32 v16, v13, v15, v14
	v_sub_u32_e32 v13, v3, v16
	v_mov_b32_e32 v14, s63
	v_sub_co_u32_e32 v7, vcc, v7, v12
	s_nop 1
	v_subb_co_u32_e64 v12, s[6:7], v13, v14, vcc
	v_subrev_co_u32_e64 v13, s[6:7], s62, v7
	v_subb_co_u32_e32 v3, vcc, v3, v16, vcc
	s_nop 0
	v_subbrev_co_u32_e64 v12, s[6:7], 0, v12, s[6:7]
	v_cmp_le_u32_e64 s[6:7], s63, v12
	v_cmp_le_u32_e32 vcc, s63, v3
	s_nop 0
	v_cndmask_b32_e64 v14, 0, -1, s[6:7]
	v_cmp_le_u32_e64 s[6:7], s62, v13
	s_nop 1
	v_cndmask_b32_e64 v13, 0, -1, s[6:7]
	v_cmp_eq_u32_e64 s[6:7], s63, v12
	s_nop 1
	v_cndmask_b32_e64 v17, v14, v13, s[6:7]
	v_lshl_add_u64 v[12:13], v[10:11], 0, 2
	v_lshl_add_u64 v[14:15], v[10:11], 0, 1
	v_cmp_ne_u32_e64 s[6:7], 0, v17
	s_nop 1
	v_cndmask_b32_e64 v13, v15, v13, s[6:7]
	v_cndmask_b32_e64 v15, 0, -1, vcc
	v_cmp_le_u32_e32 vcc, s62, v7
	s_nop 1
	v_cndmask_b32_e64 v7, 0, -1, vcc
	v_cmp_eq_u32_e32 vcc, s63, v3
	s_nop 1
	v_cndmask_b32_e32 v3, v15, v7, vcc
	v_cmp_ne_u32_e32 vcc, 0, v3
	v_cndmask_b32_e64 v7, v14, v12, s[6:7]
	s_nop 0
	v_cndmask_b32_e32 v7, v10, v7, vcc
	v_xor_b32_e32 v10, s60, v6
	v_cndmask_b32_e32 v3, v11, v13, vcc
	v_xor_b32_e32 v6, v7, v10
	v_xor_b32_e32 v3, v3, v10
	v_sub_co_u32_e32 v6, vcc, v6, v10
	s_nop 1
	v_subb_co_u32_e32 v7, vcc, v3, v10, vcc
                                        ; implicit-def: $vgpr10_vgpr11
.LBB24_15:                              ;   in Loop: Header=BB24_3 Depth=1
	s_andn2_saveexec_b64 s[6:7], s[8:9]
	s_cbranch_execz .LBB24_17
; %bb.16:                               ;   in Loop: Header=BB24_3 Depth=1
	v_cvt_f32_u32_e32 v3, s82
	s_sub_i32 s8, 0, s82
	v_rcp_iflag_f32_e32 v3, v3
	s_nop 0
	v_mul_f32_e32 v3, 0x4f7ffffe, v3
	v_cvt_u32_f32_e32 v3, v3
	v_mul_lo_u32 v6, s8, v3
	v_mul_hi_u32 v6, v3, v6
	v_add_u32_e32 v3, v3, v6
	v_mul_hi_u32 v3, v10, v3
	v_mul_lo_u32 v6, v3, s82
	v_sub_u32_e32 v6, v10, v6
	v_add_u32_e32 v7, 1, v3
	v_subrev_u32_e32 v10, s82, v6
	v_cmp_le_u32_e32 vcc, s82, v6
	s_nop 1
	v_cndmask_b32_e32 v6, v6, v10, vcc
	v_cndmask_b32_e32 v3, v3, v7, vcc
	v_add_u32_e32 v7, 1, v3
	v_cmp_le_u32_e32 vcc, s82, v6
	s_nop 1
	v_cndmask_b32_e32 v6, v3, v7, vcc
	v_mov_b32_e32 v7, v2
.LBB24_17:                              ;   in Loop: Header=BB24_3 Depth=1
	s_or_b64 exec, exec, s[6:7]
	v_mul_lo_u32 v3, v9, s22
	v_mul_lo_u32 v10, v8, s23
	v_mad_u64_u32 v[8:9], s[6:7], v8, s22, 0
	v_add3_u32 v3, v9, v10, v3
	v_sub_co_u32_e32 v8, vcc, v0, v8
	s_nop 1
	v_subb_co_u32_e32 v9, vcc, v1, v3, vcc
	v_lshl_add_u64 v[10:11], v[8:9], 0, s[40:41]
	v_cmp_le_i64_e32 vcc, s[38:39], v[10:11]
	v_mov_b64_e32 v[8:9], 0
	s_and_saveexec_b64 s[8:9], vcc
	s_cbranch_execz .LBB24_23
; %bb.18:                               ;   in Loop: Header=BB24_3 Depth=1
	v_mov_b32_e32 v3, s39
	v_subrev_co_u32_e32 v8, vcc, s38, v10
                                        ; implicit-def: $vgpr12_vgpr13
	s_nop 1
	v_subb_co_u32_e32 v9, vcc, v11, v3, vcc
	v_or_b32_e32 v3, s83, v9
	v_cmp_ne_u64_e32 vcc, 0, v[2:3]
	s_and_saveexec_b64 s[6:7], vcc
	s_xor_b64 s[60:61], exec, s[6:7]
	s_cbranch_execz .LBB24_20
; %bb.19:                               ;   in Loop: Header=BB24_3 Depth=1
	s_ashr_i32 s62, s83, 31
	s_add_u32 s6, s84, s62
	s_mov_b32 s63, s62
	s_addc_u32 s7, s83, s62
	s_xor_b64 s[64:65], s[6:7], s[62:63]
	v_cvt_f32_u32_e32 v3, s64
	v_cvt_f32_u32_e32 v12, s65
	s_sub_u32 s63, 0, s64
	s_subb_u32 s66, 0, s65
	v_mov_b32_e32 v15, v2
	v_fmac_f32_e32 v3, 0x4f800000, v12
	v_rcp_f32_e32 v3, v3
	s_nop 0
	v_mul_f32_e32 v3, 0x5f7ffffc, v3
	v_mul_f32_e32 v12, 0x2f800000, v3
	v_trunc_f32_e32 v12, v12
	v_fmac_f32_e32 v3, 0xcf800000, v12
	v_cvt_u32_f32_e32 v12, v12
	v_cvt_u32_f32_e32 v3, v3
	v_readfirstlane_b32 s67, v12
	v_readfirstlane_b32 s6, v3
	s_mul_i32 s7, s63, s67
	s_mul_hi_u32 s69, s63, s6
	s_mul_i32 s68, s66, s6
	s_add_i32 s7, s69, s7
	s_add_i32 s7, s7, s68
	s_mul_i32 s70, s63, s6
	s_mul_i32 s69, s6, s7
	s_mul_hi_u32 s71, s6, s70
	s_mul_hi_u32 s68, s6, s7
	s_add_u32 s69, s71, s69
	s_addc_u32 s68, 0, s68
	s_mul_hi_u32 s72, s67, s70
	s_mul_i32 s70, s67, s70
	s_add_u32 s69, s69, s70
	s_mul_hi_u32 s71, s67, s7
	s_addc_u32 s68, s68, s72
	s_addc_u32 s69, s71, 0
	s_mul_i32 s7, s67, s7
	s_add_u32 s7, s68, s7
	s_addc_u32 s68, 0, s69
	s_add_u32 s69, s6, s7
	s_cselect_b64 s[6:7], -1, 0
	s_cmp_lg_u64 s[6:7], 0
	s_addc_u32 s67, s67, s68
	s_mul_i32 s6, s63, s67
	s_mul_hi_u32 s7, s63, s69
	s_add_i32 s6, s7, s6
	s_mul_i32 s66, s66, s69
	s_add_i32 s6, s6, s66
	s_mul_i32 s63, s63, s69
	s_mul_hi_u32 s66, s67, s63
	s_mul_i32 s68, s67, s63
	s_mul_i32 s71, s69, s6
	s_mul_hi_u32 s63, s69, s63
	s_mul_hi_u32 s70, s69, s6
	s_add_u32 s63, s63, s71
	s_addc_u32 s70, 0, s70
	s_add_u32 s63, s63, s68
	s_mul_hi_u32 s7, s67, s6
	s_addc_u32 s63, s70, s66
	s_addc_u32 s7, s7, 0
	s_mul_i32 s6, s67, s6
	s_add_u32 s6, s63, s6
	s_addc_u32 s63, 0, s7
	s_add_u32 s66, s69, s6
	v_ashrrev_i32_e32 v12, 31, v9
	s_cselect_b64 s[6:7], -1, 0
	v_mov_b32_e32 v13, v12
	s_cmp_lg_u64 s[6:7], 0
	v_lshl_add_u64 v[8:9], v[8:9], 0, v[12:13]
	s_addc_u32 s63, s67, s63
	v_xor_b32_e32 v13, v8, v12
	v_xor_b32_e32 v3, v9, v12
	v_mad_u64_u32 v[8:9], s[6:7], v13, s63, 0
	v_mul_hi_u32 v14, v13, s66
	v_lshl_add_u64 v[8:9], v[14:15], 0, v[8:9]
	v_mad_u64_u32 v[16:17], s[6:7], v3, s66, 0
	v_add_co_u32_e32 v8, vcc, v8, v16
	v_mad_u64_u32 v[14:15], s[6:7], v3, s63, 0
	s_nop 0
	v_addc_co_u32_e32 v8, vcc, v9, v17, vcc
	v_mov_b32_e32 v9, v2
	s_nop 0
	v_addc_co_u32_e32 v15, vcc, 0, v15, vcc
	v_lshl_add_u64 v[8:9], v[8:9], 0, v[14:15]
	v_mul_lo_u32 v16, s65, v8
	v_mul_lo_u32 v17, s64, v9
	v_mad_u64_u32 v[14:15], s[6:7], s64, v8, 0
	v_add3_u32 v18, v15, v17, v16
	v_sub_u32_e32 v15, v3, v18
	v_mov_b32_e32 v16, s65
	v_sub_co_u32_e32 v13, vcc, v13, v14
	s_nop 1
	v_subb_co_u32_e64 v14, s[6:7], v15, v16, vcc
	v_subrev_co_u32_e64 v15, s[6:7], s64, v13
	v_subb_co_u32_e32 v3, vcc, v3, v18, vcc
	s_nop 0
	v_subbrev_co_u32_e64 v14, s[6:7], 0, v14, s[6:7]
	v_cmp_le_u32_e64 s[6:7], s65, v14
	v_cmp_le_u32_e32 vcc, s65, v3
	s_nop 0
	v_cndmask_b32_e64 v16, 0, -1, s[6:7]
	v_cmp_le_u32_e64 s[6:7], s64, v15
	s_nop 1
	v_cndmask_b32_e64 v15, 0, -1, s[6:7]
	v_cmp_eq_u32_e64 s[6:7], s65, v14
	s_nop 1
	v_cndmask_b32_e64 v19, v16, v15, s[6:7]
	v_lshl_add_u64 v[14:15], v[8:9], 0, 2
	v_lshl_add_u64 v[16:17], v[8:9], 0, 1
	v_cmp_ne_u32_e64 s[6:7], 0, v19
	s_nop 1
	v_cndmask_b32_e64 v15, v17, v15, s[6:7]
	v_cndmask_b32_e64 v17, 0, -1, vcc
	v_cmp_le_u32_e32 vcc, s64, v13
	s_nop 1
	v_cndmask_b32_e64 v13, 0, -1, vcc
	v_cmp_eq_u32_e32 vcc, s65, v3
	s_nop 1
	v_cndmask_b32_e32 v3, v17, v13, vcc
	v_cmp_ne_u32_e32 vcc, 0, v3
	s_nop 1
	v_cndmask_b32_e32 v3, v9, v15, vcc
	v_cndmask_b32_e64 v9, v16, v14, s[6:7]
	v_cndmask_b32_e32 v8, v8, v9, vcc
	v_xor_b32_e32 v9, s62, v12
	v_xor_b32_e32 v8, v8, v9
	v_xor_b32_e32 v3, v3, v9
	v_sub_co_u32_e32 v12, vcc, v8, v9
                                        ; implicit-def: $vgpr8
	s_nop 1
	v_subb_co_u32_e32 v13, vcc, v3, v9, vcc
.LBB24_20:                              ;   in Loop: Header=BB24_3 Depth=1
	s_andn2_saveexec_b64 s[6:7], s[60:61]
	s_cbranch_execz .LBB24_22
; %bb.21:                               ;   in Loop: Header=BB24_3 Depth=1
	v_cvt_f32_u32_e32 v3, s84
	s_sub_i32 s60, 0, s84
	v_mov_b32_e32 v13, v2
	v_rcp_iflag_f32_e32 v3, v3
	s_nop 0
	v_mul_f32_e32 v3, 0x4f7ffffe, v3
	v_cvt_u32_f32_e32 v3, v3
	v_mul_lo_u32 v9, s60, v3
	v_mul_hi_u32 v9, v3, v9
	v_add_u32_e32 v3, v3, v9
	v_mul_hi_u32 v3, v8, v3
	v_mul_lo_u32 v9, v3, s84
	v_sub_u32_e32 v8, v8, v9
	v_add_u32_e32 v12, 1, v3
	v_subrev_u32_e32 v9, s84, v8
	v_cmp_le_u32_e32 vcc, s84, v8
	s_nop 1
	v_cndmask_b32_e32 v8, v8, v9, vcc
	v_cndmask_b32_e32 v3, v3, v12, vcc
	v_add_u32_e32 v9, 1, v3
	v_cmp_le_u32_e32 vcc, s84, v8
	s_nop 1
	v_cndmask_b32_e32 v12, v3, v9, vcc
.LBB24_22:                              ;   in Loop: Header=BB24_3 Depth=1
	s_or_b64 exec, exec, s[6:7]
	v_lshl_add_u64 v[8:9], v[12:13], 0, 1
.LBB24_23:                              ;   in Loop: Header=BB24_3 Depth=1
	s_or_b64 exec, exec, s[8:9]
	v_or_b32_e32 v3, s83, v11
	v_cmp_ne_u64_e32 vcc, 0, v[2:3]
                                        ; implicit-def: $vgpr12_vgpr13
	s_and_saveexec_b64 s[6:7], vcc
	s_xor_b64 s[8:9], exec, s[6:7]
	s_cbranch_execnz .LBB24_26
; %bb.24:                               ;   in Loop: Header=BB24_3 Depth=1
	s_andn2_saveexec_b64 s[6:7], s[8:9]
	s_cbranch_execnz .LBB24_27
.LBB24_25:                              ;   in Loop: Header=BB24_3 Depth=1
	s_or_b64 exec, exec, s[6:7]
	s_andn2_b64 vcc, exec, s[0:1]
	s_cbranch_vccnz .LBB24_2
	s_branch .LBB24_28
.LBB24_26:                              ;   in Loop: Header=BB24_3 Depth=1
	s_ashr_i32 s60, s83, 31
	s_add_u32 s6, s84, s60
	s_mov_b32 s61, s60
	s_addc_u32 s7, s83, s60
	s_xor_b64 s[62:63], s[6:7], s[60:61]
	v_cvt_f32_u32_e32 v3, s62
	v_cvt_f32_u32_e32 v12, s63
	s_sub_u32 s61, 0, s62
	s_subb_u32 s64, 0, s63
	v_mov_b32_e32 v15, v2
	v_fmac_f32_e32 v3, 0x4f800000, v12
	v_rcp_f32_e32 v3, v3
	s_nop 0
	v_mul_f32_e32 v3, 0x5f7ffffc, v3
	v_mul_f32_e32 v12, 0x2f800000, v3
	v_trunc_f32_e32 v12, v12
	v_fmac_f32_e32 v3, 0xcf800000, v12
	v_cvt_u32_f32_e32 v12, v12
	v_cvt_u32_f32_e32 v3, v3
	v_readfirstlane_b32 s65, v12
	v_readfirstlane_b32 s6, v3
	s_mul_i32 s7, s61, s65
	s_mul_hi_u32 s67, s61, s6
	s_mul_i32 s66, s64, s6
	s_add_i32 s7, s67, s7
	s_add_i32 s7, s7, s66
	s_mul_i32 s68, s61, s6
	s_mul_i32 s67, s6, s7
	s_mul_hi_u32 s69, s6, s68
	s_mul_hi_u32 s66, s6, s7
	s_add_u32 s67, s69, s67
	s_addc_u32 s66, 0, s66
	s_mul_hi_u32 s70, s65, s68
	s_mul_i32 s68, s65, s68
	s_add_u32 s67, s67, s68
	s_mul_hi_u32 s69, s65, s7
	s_addc_u32 s66, s66, s70
	s_addc_u32 s67, s69, 0
	s_mul_i32 s7, s65, s7
	s_add_u32 s7, s66, s7
	s_addc_u32 s66, 0, s67
	s_add_u32 s67, s6, s7
	s_cselect_b64 s[6:7], -1, 0
	s_cmp_lg_u64 s[6:7], 0
	s_addc_u32 s65, s65, s66
	s_mul_i32 s6, s61, s65
	s_mul_hi_u32 s7, s61, s67
	s_add_i32 s6, s7, s6
	s_mul_i32 s64, s64, s67
	s_add_i32 s6, s6, s64
	s_mul_i32 s61, s61, s67
	s_mul_hi_u32 s64, s65, s61
	s_mul_i32 s66, s65, s61
	s_mul_i32 s69, s67, s6
	s_mul_hi_u32 s61, s67, s61
	s_mul_hi_u32 s68, s67, s6
	s_add_u32 s61, s61, s69
	s_addc_u32 s68, 0, s68
	s_add_u32 s61, s61, s66
	s_mul_hi_u32 s7, s65, s6
	s_addc_u32 s61, s68, s64
	s_addc_u32 s7, s7, 0
	s_mul_i32 s6, s65, s6
	s_add_u32 s6, s61, s6
	s_addc_u32 s61, 0, s7
	s_add_u32 s64, s67, s6
	v_ashrrev_i32_e32 v12, 31, v11
	s_cselect_b64 s[6:7], -1, 0
	v_mov_b32_e32 v13, v12
	s_cmp_lg_u64 s[6:7], 0
	v_lshl_add_u64 v[10:11], v[10:11], 0, v[12:13]
	s_addc_u32 s61, s65, s61
	v_xor_b32_e32 v13, v10, v12
	v_xor_b32_e32 v3, v11, v12
	v_mad_u64_u32 v[10:11], s[6:7], v13, s61, 0
	v_mul_hi_u32 v14, v13, s64
	v_lshl_add_u64 v[10:11], v[14:15], 0, v[10:11]
	v_mad_u64_u32 v[16:17], s[6:7], v3, s64, 0
	v_add_co_u32_e32 v10, vcc, v10, v16
	v_mad_u64_u32 v[14:15], s[6:7], v3, s61, 0
	s_nop 0
	v_addc_co_u32_e32 v10, vcc, v11, v17, vcc
	v_mov_b32_e32 v11, v2
	s_nop 0
	v_addc_co_u32_e32 v15, vcc, 0, v15, vcc
	v_lshl_add_u64 v[10:11], v[10:11], 0, v[14:15]
	v_mul_lo_u32 v16, s63, v10
	v_mul_lo_u32 v17, s62, v11
	v_mad_u64_u32 v[14:15], s[6:7], s62, v10, 0
	v_add3_u32 v18, v15, v17, v16
	v_sub_u32_e32 v15, v3, v18
	v_mov_b32_e32 v16, s63
	v_sub_co_u32_e32 v13, vcc, v13, v14
	s_nop 1
	v_subb_co_u32_e64 v14, s[6:7], v15, v16, vcc
	v_subrev_co_u32_e64 v15, s[6:7], s62, v13
	v_subb_co_u32_e32 v3, vcc, v3, v18, vcc
	s_nop 0
	v_subbrev_co_u32_e64 v14, s[6:7], 0, v14, s[6:7]
	v_cmp_le_u32_e64 s[6:7], s63, v14
	v_cmp_le_u32_e32 vcc, s63, v3
	s_nop 0
	v_cndmask_b32_e64 v16, 0, -1, s[6:7]
	v_cmp_le_u32_e64 s[6:7], s62, v15
	s_nop 1
	v_cndmask_b32_e64 v15, 0, -1, s[6:7]
	v_cmp_eq_u32_e64 s[6:7], s63, v14
	s_nop 1
	v_cndmask_b32_e64 v19, v16, v15, s[6:7]
	v_lshl_add_u64 v[14:15], v[10:11], 0, 2
	v_lshl_add_u64 v[16:17], v[10:11], 0, 1
	v_cmp_ne_u32_e64 s[6:7], 0, v19
	s_nop 1
	v_cndmask_b32_e64 v15, v17, v15, s[6:7]
	v_cndmask_b32_e64 v17, 0, -1, vcc
	v_cmp_le_u32_e32 vcc, s62, v13
	s_nop 1
	v_cndmask_b32_e64 v13, 0, -1, vcc
	v_cmp_eq_u32_e32 vcc, s63, v3
	s_nop 1
	v_cndmask_b32_e32 v3, v17, v13, vcc
	v_cmp_ne_u32_e32 vcc, 0, v3
	s_nop 1
	v_cndmask_b32_e32 v3, v11, v15, vcc
	v_cndmask_b32_e64 v11, v16, v14, s[6:7]
	v_cndmask_b32_e32 v10, v10, v11, vcc
	v_xor_b32_e32 v11, s60, v12
	v_xor_b32_e32 v10, v10, v11
	;; [unrolled: 1-line block ×3, first 2 shown]
	v_sub_co_u32_e32 v12, vcc, v10, v11
	s_nop 1
	v_subb_co_u32_e32 v13, vcc, v3, v11, vcc
                                        ; implicit-def: $vgpr10_vgpr11
	s_andn2_saveexec_b64 s[6:7], s[8:9]
	s_cbranch_execz .LBB24_25
.LBB24_27:                              ;   in Loop: Header=BB24_3 Depth=1
	v_cvt_f32_u32_e32 v3, s84
	s_sub_i32 s8, 0, s84
	v_mov_b32_e32 v13, v2
	v_rcp_iflag_f32_e32 v3, v3
	s_nop 0
	v_mul_f32_e32 v3, 0x4f7ffffe, v3
	v_cvt_u32_f32_e32 v3, v3
	v_mul_lo_u32 v11, s8, v3
	v_mul_hi_u32 v11, v3, v11
	v_add_u32_e32 v3, v3, v11
	v_mul_hi_u32 v3, v10, v3
	v_mul_lo_u32 v11, v3, s84
	v_sub_u32_e32 v10, v10, v11
	v_add_u32_e32 v12, 1, v3
	v_subrev_u32_e32 v11, s84, v10
	v_cmp_le_u32_e32 vcc, s84, v10
	s_nop 1
	v_cndmask_b32_e32 v10, v10, v11, vcc
	v_cndmask_b32_e32 v3, v3, v12, vcc
	v_add_u32_e32 v11, 1, v3
	v_cmp_le_u32_e32 vcc, s84, v10
	s_nop 1
	v_cndmask_b32_e32 v12, v3, v11, vcc
	s_or_b64 exec, exec, s[6:7]
	s_andn2_b64 vcc, exec, s[0:1]
	s_cbranch_vccnz .LBB24_2
.LBB24_28:                              ;   in Loop: Header=BB24_3 Depth=1
	v_lshl_add_u64 v[10:11], v[12:13], 0, 1
	v_mov_b32_e32 v3, s27
	v_cmp_gt_i64_e32 vcc, s[26:27], v[10:11]
	s_load_dword s85, s[28:29], 0x4
	v_lshl_add_u64 v[6:7], v[6:7], 0, 1
	v_cndmask_b32_e32 v11, v3, v11, vcc
	v_mov_b32_e32 v3, s26
	v_cndmask_b32_e32 v10, v3, v10, vcc
	v_mov_b32_e32 v3, s25
	v_cmp_gt_i64_e32 vcc, s[24:25], v[6:7]
	v_lshl_add_u64 v[14:15], s[44:45], 0, v[4:5]
	v_mad_u64_u32 v[16:17], s[60:61], s26, v14, v[8:9]
	v_cndmask_b32_e32 v7, v3, v7, vcc
	v_mov_b32_e32 v3, s24
	v_cndmask_b32_e32 v6, v3, v6, vcc
	v_mul_lo_u32 v3, s26, v15
	v_mul_lo_u32 v15, s27, v14
	v_add3_u32 v17, v15, v17, v3
	s_waitcnt lgkmcnt(0)
	s_mul_i32 s60, s47, s85
	s_mul_hi_u32 s61, s46, s85
	s_mul_i32 s62, s53, s85
	s_mul_hi_u32 s63, s52, s85
	v_lshl_add_u64 v[12:13], v[0:1], 1, s[30:31]
	v_cmp_lt_i64_e64 s[6:7], v[4:5], v[6:7]
	v_cmp_lt_i64_e64 s[8:9], v[8:9], v[10:11]
	v_lshl_add_u64 v[14:15], v[16:17], 3, s[14:15]
	s_add_i32 s61, s61, s60
	s_mul_i32 s60, s46, s85
	v_lshl_add_u64 v[16:17], v[16:17], 1, s[12:13]
	s_add_i32 s63, s63, s62
	s_mul_i32 s62, s52, s85
	s_mov_b64 s[64:65], s[10:11]
	s_branch .LBB24_30
.LBB24_29:                              ;   in Loop: Header=BB24_30 Depth=2
	s_add_u32 s64, s64, s85
	s_addc_u32 s65, s65, 0
	v_mov_b64_e32 v[18:19], s[16:17]
	v_cmp_ge_i64_e32 vcc, s[64:65], v[18:19]
	v_lshl_add_u64 v[14:15], v[14:15], 0, s[60:61]
	v_lshl_add_u64 v[16:17], v[16:17], 0, s[62:63]
	s_cbranch_vccnz .LBB24_2
.LBB24_30:                              ;   Parent Loop BB24_3 Depth=1
                                        ; =>  This Loop Header: Depth=2
                                        ;       Child Loop BB24_34 Depth 3
                                        ;         Child Loop BB24_38 Depth 4
                                        ;           Child Loop BB24_41 Depth 5
	s_andn2_b64 vcc, exec, s[2:3]
	s_cbranch_vccnz .LBB24_29
; %bb.31:                               ;   in Loop: Header=BB24_30 Depth=2
	s_load_dword s86, s[28:29], 0x8
	s_mul_i32 s66, s64, s19
	s_mul_hi_u32 s67, s64, s18
	s_add_i32 s66, s67, s66
	s_mul_i32 s67, s65, s18
	s_add_i32 s87, s66, s67
	s_waitcnt lgkmcnt(0)
	s_mul_i32 s66, s49, s86
	s_mul_hi_u32 s67, s48, s86
	s_mul_i32 s68, s55, s86
	s_mul_hi_u32 s69, s54, s86
	s_mul_i32 s88, s64, s18
	s_add_i32 s67, s67, s66
	s_mul_i32 s66, s48, s86
	s_add_i32 s69, s69, s68
	s_mul_i32 s68, s54, s86
	v_mov_b64_e32 v[18:19], v[16:17]
	v_mov_b64_e32 v[20:21], v[14:15]
	s_mov_b64 s[70:71], s[4:5]
	s_branch .LBB24_34
.LBB24_32:                              ;   in Loop: Header=BB24_34 Depth=3
	s_or_b64 exec, exec, s[74:75]
	v_cvt_f16_f32_e32 v3, v3
.LBB24_33:                              ;   in Loop: Header=BB24_34 Depth=3
	s_or_b64 exec, exec, s[72:73]
	s_add_u32 s72, s70, s88
	s_addc_u32 s73, s71, s87
	s_mul_i32 s73, s20, s73
	s_mul_hi_u32 s74, s20, s72
	s_add_i32 s73, s74, s73
	s_mul_i32 s74, s21, s72
	s_add_i32 s73, s73, s74
	s_mul_i32 s72, s20, s72
	v_lshl_add_u64 v[22:23], s[72:73], 1, v[12:13]
	s_add_u32 s70, s70, s86
	global_store_short v[22:23], v3, off
	s_addc_u32 s71, s71, 0
	v_mov_b64_e32 v[22:23], s[18:19]
	v_cmp_ge_i64_e32 vcc, s[70:71], v[22:23]
	v_lshl_add_u64 v[20:21], v[20:21], 0, s[66:67]
	v_lshl_add_u64 v[18:19], v[18:19], 0, s[68:69]
	s_cbranch_vccnz .LBB24_29
.LBB24_34:                              ;   Parent Loop BB24_3 Depth=1
                                        ;     Parent Loop BB24_30 Depth=2
                                        ; =>    This Loop Header: Depth=3
                                        ;         Child Loop BB24_38 Depth 4
                                        ;           Child Loop BB24_41 Depth 5
	v_mov_b32_e32 v3, 0
	s_and_saveexec_b64 s[72:73], s[6:7]
	s_cbranch_execz .LBB24_33
; %bb.35:                               ;   in Loop: Header=BB24_34 Depth=3
	v_mov_b32_e32 v3, 0
	s_mov_b64 s[74:75], 0
	v_mov_b64_e32 v[22:23], v[18:19]
	v_mov_b64_e32 v[24:25], v[20:21]
	;; [unrolled: 1-line block ×3, first 2 shown]
	s_branch .LBB24_38
.LBB24_36:                              ;   in Loop: Header=BB24_38 Depth=4
	s_or_b64 exec, exec, s[78:79]
.LBB24_37:                              ;   in Loop: Header=BB24_38 Depth=4
	s_or_b64 exec, exec, s[76:77]
	v_lshl_add_u64 v[26:27], v[26:27], 0, 1
	v_cmp_ge_i64_e32 vcc, v[26:27], v[6:7]
	v_lshl_add_u64 v[24:25], v[24:25], 0, s[50:51]
	s_or_b64 s[74:75], vcc, s[74:75]
	v_lshl_add_u64 v[22:23], v[22:23], 0, s[56:57]
	s_andn2_b64 exec, exec, s[74:75]
	s_cbranch_execz .LBB24_32
.LBB24_38:                              ;   Parent Loop BB24_3 Depth=1
                                        ;     Parent Loop BB24_30 Depth=2
                                        ;       Parent Loop BB24_34 Depth=3
                                        ; =>      This Loop Header: Depth=4
                                        ;           Child Loop BB24_41 Depth 5
	s_and_saveexec_b64 s[76:77], s[8:9]
	s_cbranch_execz .LBB24_37
; %bb.39:                               ;   in Loop: Header=BB24_38 Depth=4
	s_mov_b64 s[78:79], 0
	v_mov_b64_e32 v[28:29], v[22:23]
	v_mov_b64_e32 v[30:31], v[24:25]
	;; [unrolled: 1-line block ×3, first 2 shown]
	s_branch .LBB24_41
.LBB24_40:                              ;   in Loop: Header=BB24_41 Depth=5
	s_or_b64 exec, exec, s[80:81]
	v_lshl_add_u64 v[32:33], v[32:33], 0, 1
	v_cmp_ge_i64_e32 vcc, v[32:33], v[10:11]
	v_lshl_add_u64 v[30:31], v[30:31], 0, 8
	s_or_b64 s[78:79], vcc, s[78:79]
	v_lshl_add_u64 v[28:29], v[28:29], 0, 2
	s_andn2_b64 exec, exec, s[78:79]
	s_cbranch_execz .LBB24_36
.LBB24_41:                              ;   Parent Loop BB24_3 Depth=1
                                        ;     Parent Loop BB24_30 Depth=2
                                        ;       Parent Loop BB24_34 Depth=3
                                        ;         Parent Loop BB24_38 Depth=4
                                        ; =>        This Inner Loop Header: Depth=5
	global_load_dwordx2 v[36:37], v[30:31], off
	s_waitcnt vmcnt(0)
	v_cmp_eq_u64_e32 vcc, v[36:37], v[0:1]
	s_and_saveexec_b64 s[80:81], vcc
	s_cbranch_execz .LBB24_40
; %bb.42:                               ;   in Loop: Header=BB24_41 Depth=5
	global_load_ushort v35, v[28:29], off
	s_waitcnt vmcnt(0)
	v_cvt_f32_f16_e32 v35, v35
	v_add_f32_e32 v3, v3, v35
	s_branch .LBB24_40
.LBB24_43:
	s_endpgm
	.section	.rodata,"a",@progbits
	.p2align	6, 0x0
	.amdhsa_kernel _ZN2at6native12_GLOBAL__N_122max_pool_backward_nchwIN3c104HalfEflEEvPKT_PKlT1_SA_SA_SA_SA_SA_iiiiiiiiPS5_
		.amdhsa_group_segment_fixed_size 0
		.amdhsa_private_segment_fixed_size 0
		.amdhsa_kernarg_size 360
		.amdhsa_user_sgpr_count 2
		.amdhsa_user_sgpr_dispatch_ptr 0
		.amdhsa_user_sgpr_queue_ptr 0
		.amdhsa_user_sgpr_kernarg_segment_ptr 1
		.amdhsa_user_sgpr_dispatch_id 0
		.amdhsa_user_sgpr_kernarg_preload_length 0
		.amdhsa_user_sgpr_kernarg_preload_offset 0
		.amdhsa_user_sgpr_private_segment_size 0
		.amdhsa_uses_dynamic_stack 0
		.amdhsa_enable_private_segment 0
		.amdhsa_system_sgpr_workgroup_id_x 1
		.amdhsa_system_sgpr_workgroup_id_y 1
		.amdhsa_system_sgpr_workgroup_id_z 1
		.amdhsa_system_sgpr_workgroup_info 0
		.amdhsa_system_vgpr_workitem_id 0
		.amdhsa_next_free_vgpr 38
		.amdhsa_next_free_sgpr 89
		.amdhsa_accum_offset 40
		.amdhsa_reserve_vcc 1
		.amdhsa_float_round_mode_32 0
		.amdhsa_float_round_mode_16_64 0
		.amdhsa_float_denorm_mode_32 3
		.amdhsa_float_denorm_mode_16_64 3
		.amdhsa_dx10_clamp 1
		.amdhsa_ieee_mode 1
		.amdhsa_fp16_overflow 0
		.amdhsa_tg_split 0
		.amdhsa_exception_fp_ieee_invalid_op 0
		.amdhsa_exception_fp_denorm_src 0
		.amdhsa_exception_fp_ieee_div_zero 0
		.amdhsa_exception_fp_ieee_overflow 0
		.amdhsa_exception_fp_ieee_underflow 0
		.amdhsa_exception_fp_ieee_inexact 0
		.amdhsa_exception_int_div_zero 0
	.end_amdhsa_kernel
	.section	.text._ZN2at6native12_GLOBAL__N_122max_pool_backward_nchwIN3c104HalfEflEEvPKT_PKlT1_SA_SA_SA_SA_SA_iiiiiiiiPS5_,"axG",@progbits,_ZN2at6native12_GLOBAL__N_122max_pool_backward_nchwIN3c104HalfEflEEvPKT_PKlT1_SA_SA_SA_SA_SA_iiiiiiiiPS5_,comdat
.Lfunc_end24:
	.size	_ZN2at6native12_GLOBAL__N_122max_pool_backward_nchwIN3c104HalfEflEEvPKT_PKlT1_SA_SA_SA_SA_SA_iiiiiiiiPS5_, .Lfunc_end24-_ZN2at6native12_GLOBAL__N_122max_pool_backward_nchwIN3c104HalfEflEEvPKT_PKlT1_SA_SA_SA_SA_SA_iiiiiiiiPS5_
                                        ; -- End function
	.set _ZN2at6native12_GLOBAL__N_122max_pool_backward_nchwIN3c104HalfEflEEvPKT_PKlT1_SA_SA_SA_SA_SA_iiiiiiiiPS5_.num_vgpr, 38
	.set _ZN2at6native12_GLOBAL__N_122max_pool_backward_nchwIN3c104HalfEflEEvPKT_PKlT1_SA_SA_SA_SA_SA_iiiiiiiiPS5_.num_agpr, 0
	.set _ZN2at6native12_GLOBAL__N_122max_pool_backward_nchwIN3c104HalfEflEEvPKT_PKlT1_SA_SA_SA_SA_SA_iiiiiiiiPS5_.numbered_sgpr, 89
	.set _ZN2at6native12_GLOBAL__N_122max_pool_backward_nchwIN3c104HalfEflEEvPKT_PKlT1_SA_SA_SA_SA_SA_iiiiiiiiPS5_.num_named_barrier, 0
	.set _ZN2at6native12_GLOBAL__N_122max_pool_backward_nchwIN3c104HalfEflEEvPKT_PKlT1_SA_SA_SA_SA_SA_iiiiiiiiPS5_.private_seg_size, 0
	.set _ZN2at6native12_GLOBAL__N_122max_pool_backward_nchwIN3c104HalfEflEEvPKT_PKlT1_SA_SA_SA_SA_SA_iiiiiiiiPS5_.uses_vcc, 1
	.set _ZN2at6native12_GLOBAL__N_122max_pool_backward_nchwIN3c104HalfEflEEvPKT_PKlT1_SA_SA_SA_SA_SA_iiiiiiiiPS5_.uses_flat_scratch, 0
	.set _ZN2at6native12_GLOBAL__N_122max_pool_backward_nchwIN3c104HalfEflEEvPKT_PKlT1_SA_SA_SA_SA_SA_iiiiiiiiPS5_.has_dyn_sized_stack, 0
	.set _ZN2at6native12_GLOBAL__N_122max_pool_backward_nchwIN3c104HalfEflEEvPKT_PKlT1_SA_SA_SA_SA_SA_iiiiiiiiPS5_.has_recursion, 0
	.set _ZN2at6native12_GLOBAL__N_122max_pool_backward_nchwIN3c104HalfEflEEvPKT_PKlT1_SA_SA_SA_SA_SA_iiiiiiiiPS5_.has_indirect_call, 0
	.section	.AMDGPU.csdata,"",@progbits
; Kernel info:
; codeLenInByte = 5160
; TotalNumSgprs: 95
; NumVgprs: 38
; NumAgprs: 0
; TotalNumVgprs: 38
; ScratchSize: 0
; MemoryBound: 0
; FloatMode: 240
; IeeeMode: 1
; LDSByteSize: 0 bytes/workgroup (compile time only)
; SGPRBlocks: 11
; VGPRBlocks: 4
; NumSGPRsForWavesPerEU: 95
; NumVGPRsForWavesPerEU: 38
; AccumOffset: 40
; Occupancy: 8
; WaveLimiterHint : 0
; COMPUTE_PGM_RSRC2:SCRATCH_EN: 0
; COMPUTE_PGM_RSRC2:USER_SGPR: 2
; COMPUTE_PGM_RSRC2:TRAP_HANDLER: 0
; COMPUTE_PGM_RSRC2:TGID_X_EN: 1
; COMPUTE_PGM_RSRC2:TGID_Y_EN: 1
; COMPUTE_PGM_RSRC2:TGID_Z_EN: 1
; COMPUTE_PGM_RSRC2:TIDIG_COMP_CNT: 0
; COMPUTE_PGM_RSRC3_GFX90A:ACCUM_OFFSET: 9
; COMPUTE_PGM_RSRC3_GFX90A:TG_SPLIT: 0
	.section	.text._ZN2at6native12_GLOBAL__N_122max_pool_backward_nhwcIN3c108BFloat16EfEEvPKT_PKlillliiiiiiiiiiiiiiiPS5_,"axG",@progbits,_ZN2at6native12_GLOBAL__N_122max_pool_backward_nhwcIN3c108BFloat16EfEEvPKT_PKlillliiiiiiiiiiiiiiiPS5_,comdat
	.globl	_ZN2at6native12_GLOBAL__N_122max_pool_backward_nhwcIN3c108BFloat16EfEEvPKT_PKlillliiiiiiiiiiiiiiiPS5_ ; -- Begin function _ZN2at6native12_GLOBAL__N_122max_pool_backward_nhwcIN3c108BFloat16EfEEvPKT_PKlillliiiiiiiiiiiiiiiPS5_
	.p2align	8
	.type	_ZN2at6native12_GLOBAL__N_122max_pool_backward_nhwcIN3c108BFloat16EfEEvPKT_PKlillliiiiiiiiiiiiiiiPS5_,@function
_ZN2at6native12_GLOBAL__N_122max_pool_backward_nhwcIN3c108BFloat16EfEEvPKT_PKlillliiiiiiiiiiiiiiiPS5_: ; @_ZN2at6native12_GLOBAL__N_122max_pool_backward_nhwcIN3c108BFloat16EfEEvPKT_PKlillliiiiiiiiiiiiiiiPS5_
; %bb.0:
	s_load_dword s40, s[0:1], 0x10
	s_load_dwordx4 s[8:11], s[0:1], 0x7c
	s_load_dwordx8 s[12:19], s[0:1], 0x30
	s_load_dwordx8 s[20:27], s[0:1], 0x50
	v_and_b32_e32 v6, 0x3ff, v0
	s_waitcnt lgkmcnt(0)
	v_cvt_f32_u32_e32 v1, s40
	v_bfe_u32 v2, v0, 10, 10
	v_bfe_u32 v3, v0, 20, 10
	s_lshr_b32 s64, s10, 16
	v_rcp_iflag_f32_e32 v1, v1
	s_and_b32 s27, s10, 0xffff
	v_mad_u32_u24 v7, v3, s64, v2
	s_sub_i32 s5, 0, s40
	v_mul_f32_e32 v0, 0x4f7ffffe, v1
	v_cvt_u32_f32_e32 v4, v0
	v_mad_u64_u32 v[0:1], s[6:7], v7, s27, v[6:7]
	s_and_b32 s33, s11, 0xffff
	v_readfirstlane_b32 s6, v4
	s_mul_i32 s5, s5, s6
	s_mul_hi_u32 s5, s6, s5
	s_add_i32 s6, s6, s5
	s_mul_i32 s5, s26, s27
	s_mul_i32 s5, s5, s64
	s_mul_i32 s5, s5, s33
	s_mul_hi_u32 s41, s2, s6
	v_cmp_gt_u32_e32 vcc, s5, v0
	s_and_saveexec_b64 s[6:7], vcc
	s_cbranch_execz .LBB25_3
; %bb.1:
	s_mul_i32 s28, s64, s27
	s_mul_i32 s28, s28, s33
	v_lshl_add_u32 v1, v0, 2, 0
	s_lshl_b32 s29, s28, 2
	s_mov_b64 s[10:11], 0
	v_mov_b32_e32 v4, 0
.LBB25_2:                               ; =>This Inner Loop Header: Depth=1
	v_add_u32_e32 v0, s28, v0
	v_cmp_le_u32_e32 vcc, s5, v0
	ds_write_b32 v1, v4
	s_or_b64 s[10:11], vcc, s[10:11]
	v_add_u32_e32 v1, s29, v1
	s_andn2_b64 exec, exec, s[10:11]
	s_cbranch_execnz .LBB25_2
.LBB25_3:
	s_or_b64 exec, exec, s[6:7]
	s_load_dwordx4 s[28:31], s[0:1], 0x18
	s_load_dwordx2 s[10:11], s[0:1], 0x28
	s_mov_b32 s5, s9
	s_mov_b32 s36, 0
	s_mov_b64 s[34:35], -1
	s_waitcnt lgkmcnt(0)
	s_add_u32 s6, s30, s9
	s_addc_u32 s7, s31, 0
	s_add_u32 s9, s6, -1
	s_addc_u32 s37, s7, -1
	s_cmp_lg_u64 s[36:37], 0
	s_barrier
	s_cbranch_scc0 .LBB25_60
; %bb.4:
	s_add_u32 s6, s5, 0
	s_addc_u32 s7, 0, 0
	s_xor_b64 s[6:7], s[6:7], 0
	v_cvt_f32_u32_e32 v0, s6
	v_cvt_f32_u32_e32 v1, s7
	s_sub_u32 s36, 0, s6
	s_subb_u32 s42, 0, s7
	v_fmamk_f32 v0, v1, 0x4f800000, v0
	v_rcp_f32_e32 v0, v0
	s_nop 0
	v_mul_f32_e32 v0, 0x5f7ffffc, v0
	v_mul_f32_e32 v1, 0x2f800000, v0
	v_trunc_f32_e32 v1, v1
	v_fmamk_f32 v0, v1, 0xcf800000, v0
	v_cvt_u32_f32_e32 v1, v1
	v_cvt_u32_f32_e32 v0, v0
	v_readfirstlane_b32 s43, v1
	v_readfirstlane_b32 s38, v0
	s_mul_i32 s39, s36, s43
	s_mul_hi_u32 s45, s36, s38
	s_mul_i32 s44, s42, s38
	s_add_i32 s39, s45, s39
	s_add_i32 s39, s39, s44
	s_mul_i32 s46, s36, s38
	s_mul_i32 s45, s38, s39
	s_mul_hi_u32 s47, s38, s46
	s_mul_hi_u32 s44, s38, s39
	s_add_u32 s45, s47, s45
	s_addc_u32 s44, 0, s44
	s_mul_hi_u32 s48, s43, s46
	s_mul_i32 s46, s43, s46
	s_add_u32 s45, s45, s46
	s_mul_hi_u32 s47, s43, s39
	s_addc_u32 s44, s44, s48
	s_addc_u32 s45, s47, 0
	s_mul_i32 s39, s43, s39
	s_add_u32 s39, s44, s39
	s_addc_u32 s44, 0, s45
	s_add_u32 s45, s38, s39
	s_cselect_b64 s[38:39], -1, 0
	s_cmp_lg_u64 s[38:39], 0
	s_addc_u32 s43, s43, s44
	s_mul_i32 s38, s36, s43
	s_mul_hi_u32 s39, s36, s45
	s_add_i32 s38, s39, s38
	s_mul_i32 s42, s42, s45
	s_add_i32 s38, s38, s42
	s_mul_i32 s36, s36, s45
	s_mul_hi_u32 s42, s43, s36
	s_mul_i32 s44, s43, s36
	s_mul_i32 s47, s45, s38
	s_mul_hi_u32 s36, s45, s36
	s_mul_hi_u32 s46, s45, s38
	s_add_u32 s36, s36, s47
	s_addc_u32 s46, 0, s46
	s_add_u32 s36, s36, s44
	s_mul_hi_u32 s39, s43, s38
	s_addc_u32 s36, s46, s42
	s_addc_u32 s39, s39, 0
	s_mul_i32 s38, s43, s38
	s_add_u32 s36, s36, s38
	s_addc_u32 s42, 0, s39
	s_add_u32 s44, s45, s36
	s_cselect_b64 s[38:39], -1, 0
	s_cmp_lg_u64 s[38:39], 0
	s_addc_u32 s42, s43, s42
	s_ashr_i32 s38, s37, 31
	s_add_u32 s36, s9, s38
	s_mov_b32 s39, s38
	s_addc_u32 s37, s37, s38
	s_xor_b64 s[36:37], s[36:37], s[38:39]
	s_mul_i32 s45, s36, s42
	s_mul_hi_u32 s46, s36, s44
	s_mul_hi_u32 s43, s36, s42
	s_add_u32 s45, s46, s45
	s_addc_u32 s43, 0, s43
	s_mul_hi_u32 s47, s37, s44
	s_mul_i32 s44, s37, s44
	s_add_u32 s44, s45, s44
	s_mul_hi_u32 s46, s37, s42
	s_addc_u32 s43, s43, s47
	s_addc_u32 s44, s46, 0
	s_mul_i32 s42, s37, s42
	s_add_u32 s46, s43, s42
	s_addc_u32 s47, 0, s44
	s_mul_i32 s42, s6, s47
	s_mul_hi_u32 s43, s6, s46
	s_add_i32 s42, s43, s42
	s_mul_i32 s43, s7, s46
	s_add_i32 s48, s42, s43
	s_sub_i32 s44, s37, s48
	s_mul_i32 s42, s6, s46
	s_sub_u32 s36, s36, s42
	s_cselect_b64 s[42:43], -1, 0
	s_cmp_lg_u64 s[42:43], 0
	s_subb_u32 s49, s44, s7
	s_sub_u32 s50, s36, s6
	s_cselect_b64 s[44:45], -1, 0
	s_cmp_lg_u64 s[44:45], 0
	s_subb_u32 s44, s49, 0
	s_cmp_ge_u32 s44, s7
	s_cselect_b32 s45, -1, 0
	s_cmp_ge_u32 s50, s6
	s_cselect_b32 s49, -1, 0
	s_cmp_eq_u32 s44, s7
	s_cselect_b32 s44, s49, s45
	s_add_u32 s45, s46, 1
	s_addc_u32 s49, s47, 0
	s_add_u32 s50, s46, 2
	s_addc_u32 s51, s47, 0
	s_cmp_lg_u32 s44, 0
	s_cselect_b32 s44, s50, s45
	s_cselect_b32 s45, s51, s49
	s_cmp_lg_u64 s[42:43], 0
	s_subb_u32 s37, s37, s48
	s_cmp_ge_u32 s37, s7
	s_cselect_b32 s42, -1, 0
	s_cmp_ge_u32 s36, s6
	s_cselect_b32 s6, -1, 0
	s_cmp_eq_u32 s37, s7
	s_cselect_b32 s6, s6, s42
	s_cmp_lg_u32 s6, 0
	s_cselect_b32 s7, s45, s47
	s_cselect_b32 s6, s44, s46
	s_xor_b64 s[36:37], s[38:39], 0
	s_xor_b64 s[6:7], s[6:7], s[36:37]
	s_sub_u32 s6, s6, s36
	s_subb_u32 s7, s7, s37
	s_cbranch_execnz .LBB25_6
.LBB25_5:
	v_cvt_f32_u32_e32 v0, s5
	s_sub_i32 s6, 0, s5
	s_mov_b32 s7, 0
	v_rcp_iflag_f32_e32 v0, v0
	s_nop 0
	v_mul_f32_e32 v0, 0x4f7ffffe, v0
	v_cvt_u32_f32_e32 v0, v0
	s_nop 0
	v_readfirstlane_b32 s34, v0
	s_mul_i32 s6, s6, s34
	s_mul_hi_u32 s6, s34, s6
	s_add_i32 s34, s34, s6
	s_mul_hi_u32 s6, s9, s34
	s_mul_i32 s35, s6, s5
	s_sub_i32 s9, s9, s35
	s_add_i32 s34, s6, 1
	s_sub_i32 s35, s9, s5
	s_cmp_ge_u32 s9, s5
	s_cselect_b32 s6, s34, s6
	s_cselect_b32 s9, s35, s9
	s_add_i32 s34, s6, 1
	s_cmp_ge_u32 s9, s5
	s_cselect_b32 s6, s34, s6
.LBB25_6:
	s_add_u32 s5, s10, s8
	s_addc_u32 s9, s11, 0
	s_add_u32 s5, s5, -1
	s_mov_b32 s38, 0
	s_addc_u32 s39, s9, -1
	s_cmp_lg_u64 s[38:39], 0
	s_mov_b64 s[34:35], -1
	s_cbranch_scc0 .LBB25_61
; %bb.7:
	s_add_u32 s34, s8, 0
	s_addc_u32 s35, 0, 0
	s_xor_b64 s[36:37], s[34:35], 0
	v_cvt_f32_u32_e32 v0, s36
	v_cvt_f32_u32_e32 v1, s37
	s_sub_u32 s9, 0, s36
	s_subb_u32 s38, 0, s37
	v_fmamk_f32 v0, v1, 0x4f800000, v0
	v_rcp_f32_e32 v0, v0
	s_nop 0
	v_mul_f32_e32 v0, 0x5f7ffffc, v0
	v_mul_f32_e32 v1, 0x2f800000, v0
	v_trunc_f32_e32 v1, v1
	v_fmamk_f32 v0, v1, 0xcf800000, v0
	v_cvt_u32_f32_e32 v1, v1
	v_cvt_u32_f32_e32 v0, v0
	v_readfirstlane_b32 s44, v1
	v_readfirstlane_b32 s42, v0
	s_mul_i32 s43, s9, s44
	s_mul_hi_u32 s46, s9, s42
	s_mul_i32 s45, s38, s42
	s_add_i32 s43, s46, s43
	s_add_i32 s43, s43, s45
	s_mul_i32 s47, s9, s42
	s_mul_i32 s46, s42, s43
	s_mul_hi_u32 s48, s42, s47
	s_mul_hi_u32 s45, s42, s43
	s_add_u32 s46, s48, s46
	s_addc_u32 s45, 0, s45
	s_mul_hi_u32 s49, s44, s47
	s_mul_i32 s47, s44, s47
	s_add_u32 s46, s46, s47
	s_mul_hi_u32 s48, s44, s43
	s_addc_u32 s45, s45, s49
	s_addc_u32 s46, s48, 0
	s_mul_i32 s43, s44, s43
	s_add_u32 s43, s45, s43
	s_addc_u32 s45, 0, s46
	s_add_u32 s46, s42, s43
	s_cselect_b64 s[42:43], -1, 0
	s_cmp_lg_u64 s[42:43], 0
	s_addc_u32 s44, s44, s45
	s_mul_i32 s42, s9, s44
	s_mul_hi_u32 s43, s9, s46
	s_add_i32 s42, s43, s42
	s_mul_i32 s38, s38, s46
	s_add_i32 s42, s42, s38
	s_mul_i32 s9, s9, s46
	s_mul_hi_u32 s43, s44, s9
	s_mul_i32 s45, s44, s9
	s_mul_i32 s48, s46, s42
	s_mul_hi_u32 s9, s46, s9
	s_mul_hi_u32 s47, s46, s42
	s_add_u32 s9, s9, s48
	s_addc_u32 s47, 0, s47
	s_add_u32 s9, s9, s45
	s_mul_hi_u32 s38, s44, s42
	s_addc_u32 s9, s47, s43
	s_addc_u32 s38, s38, 0
	s_mul_i32 s42, s44, s42
	s_add_u32 s9, s9, s42
	s_addc_u32 s38, 0, s38
	s_add_u32 s9, s46, s9
	s_cselect_b64 s[42:43], -1, 0
	s_cmp_lg_u64 s[42:43], 0
	s_addc_u32 s44, s44, s38
	s_ashr_i32 s42, s39, 31
	s_add_u32 s38, s5, s42
	s_mov_b32 s43, s42
	s_addc_u32 s39, s39, s42
	s_xor_b64 s[38:39], s[38:39], s[42:43]
	s_mul_i32 s46, s38, s44
	s_mul_hi_u32 s47, s38, s9
	s_mul_hi_u32 s45, s38, s44
	s_add_u32 s46, s47, s46
	s_addc_u32 s45, 0, s45
	s_mul_hi_u32 s48, s39, s9
	s_mul_i32 s9, s39, s9
	s_add_u32 s9, s46, s9
	s_mul_hi_u32 s47, s39, s44
	s_addc_u32 s9, s45, s48
	s_addc_u32 s45, s47, 0
	s_mul_i32 s44, s39, s44
	s_add_u32 s9, s9, s44
	s_addc_u32 s48, 0, s45
	s_mul_i32 s44, s36, s48
	s_mul_hi_u32 s45, s36, s9
	s_add_i32 s44, s45, s44
	s_mul_i32 s45, s37, s9
	s_add_i32 s49, s44, s45
	s_sub_i32 s46, s39, s49
	s_mul_i32 s44, s36, s9
	s_sub_u32 s38, s38, s44
	s_cselect_b64 s[44:45], -1, 0
	s_cmp_lg_u64 s[44:45], 0
	s_subb_u32 s50, s46, s37
	s_sub_u32 s51, s38, s36
	s_cselect_b64 s[46:47], -1, 0
	s_cmp_lg_u64 s[46:47], 0
	s_subb_u32 s46, s50, 0
	s_cmp_ge_u32 s46, s37
	s_cselect_b32 s47, -1, 0
	s_cmp_ge_u32 s51, s36
	s_cselect_b32 s50, -1, 0
	s_cmp_eq_u32 s46, s37
	s_cselect_b32 s46, s50, s47
	s_add_u32 s47, s9, 1
	s_addc_u32 s50, s48, 0
	s_add_u32 s51, s9, 2
	s_addc_u32 s52, s48, 0
	s_cmp_lg_u32 s46, 0
	s_cselect_b32 s46, s51, s47
	s_cselect_b32 s47, s52, s50
	s_cmp_lg_u64 s[44:45], 0
	s_subb_u32 s39, s39, s49
	s_cmp_ge_u32 s39, s37
	s_cselect_b32 s44, -1, 0
	s_cmp_ge_u32 s38, s36
	s_cselect_b32 s36, -1, 0
	s_cmp_eq_u32 s39, s37
	s_cselect_b32 s36, s36, s44
	s_cmp_lg_u32 s36, 0
	s_cselect_b32 s37, s47, s48
	s_cselect_b32 s36, s46, s9
	s_xor_b64 s[38:39], s[42:43], 0
	s_xor_b64 s[36:37], s[36:37], s[38:39]
	s_sub_u32 s36, s36, s38
	s_subb_u32 s37, s37, s39
	s_cbranch_execnz .LBB25_9
.LBB25_8:
	v_cvt_f32_u32_e32 v0, s8
	s_sub_i32 s9, 0, s8
	s_mov_b32 s37, 0
	v_rcp_iflag_f32_e32 v0, v0
	s_nop 0
	v_mul_f32_e32 v0, 0x4f7ffffe, v0
	v_cvt_u32_f32_e32 v0, v0
	s_nop 0
	v_readfirstlane_b32 s34, v0
	s_mul_i32 s9, s9, s34
	s_mul_hi_u32 s9, s34, s9
	s_add_i32 s34, s34, s9
	s_mul_hi_u32 s9, s5, s34
	s_mul_i32 s35, s9, s8
	s_sub_i32 s5, s5, s35
	s_add_i32 s34, s9, 1
	s_sub_i32 s35, s5, s8
	s_cmp_ge_u32 s5, s8
	s_cselect_b32 s9, s34, s9
	s_cselect_b32 s5, s35, s5
	s_add_i32 s34, s9, 1
	s_cmp_ge_u32 s5, s8
	s_cselect_b32 s36, s34, s9
.LBB25_9:
	s_mul_i32 s4, s4, s6
	v_add_u32_e32 v0, s4, v3
	v_ashrrev_i32_e32 v1, 31, v0
	s_bfe_i64 s[4:5], s[6:7], 0x200000
	v_lshl_add_u64 v[4:5], s[4:5], 0, v[0:1]
	v_mov_b32_e32 v1, s30
	v_cmp_gt_i64_e32 vcc, s[30:31], v[4:5]
	s_nop 1
	v_cndmask_b32_e32 v1, v1, v4, vcc
	v_cmp_lt_i32_e32 vcc, v0, v1
	s_and_saveexec_b64 s[4:5], vcc
	s_cbranch_execz .LBB25_59
; %bb.10:
	s_mul_i32 s3, s3, s36
	v_add_u32_e32 v2, s3, v2
	v_ashrrev_i32_e32 v3, 31, v2
	s_bfe_i64 s[4:5], s[36:37], 0x200000
	v_lshl_add_u64 v[4:5], s[4:5], 0, v[2:3]
	s_load_dwordx4 s[4:7], s[0:1], 0x0
	s_load_dwordx2 s[8:9], s[0:1], 0x70
	s_mul_i32 s0, s41, s40
	s_sub_i32 s0, s2, s0
	s_add_i32 s1, s41, 1
	s_sub_i32 s3, s0, s40
	s_cmp_ge_u32 s0, s40
	s_cselect_b32 s1, s1, s41
	s_cselect_b32 s0, s3, s0
	s_add_i32 s3, s1, 1
	s_cmp_ge_u32 s0, s40
	s_cselect_b32 s38, s3, s1
	s_mul_i32 s1, s30, s29
	s_mul_hi_u32 s3, s30, s28
	s_add_i32 s1, s3, s1
	s_mul_i32 s3, s31, s28
	s_mul_i32 s0, s38, s40
	s_add_i32 s1, s1, s3
	s_mul_i32 s3, s30, s28
	v_cmp_gt_i64_e32 vcc, s[10:11], v[4:5]
	s_sub_i32 s2, s2, s0
	s_mul_i32 s11, s3, s11
	s_mul_hi_u32 s30, s3, s10
	s_ashr_i32 s0, s2, 31
	s_add_i32 s11, s30, s11
	s_mul_i32 s1, s1, s10
	s_mul_i32 s3, s3, s10
	s_add_i32 s1, s11, s1
	s_mul_i32 s0, s3, s0
	s_mul_hi_u32 s11, s3, s2
	s_mul_i32 s1, s1, s2
	s_add_i32 s0, s11, s0
	s_add_i32 s1, s0, s1
	s_mul_i32 s0, s3, s2
	s_lshl_b64 s[0:1], s[0:1], 1
	s_waitcnt lgkmcnt(0)
	s_add_u32 s30, s8, s0
	s_mul_i32 s0, s13, s12
	s_mul_i32 s0, s0, s2
	s_addc_u32 s31, s9, s1
	s_ashr_i32 s1, s0, 31
	s_mul_i32 s1, s28, s1
	s_mul_hi_u32 s2, s28, s0
	s_add_i32 s1, s2, s1
	s_mul_i32 s2, s29, s0
	s_add_i32 s1, s1, s2
	s_mul_i32 s0, s28, s0
	s_lshl_b64 s[2:3], s[0:1], 3
	s_add_u32 s34, s6, s2
	s_addc_u32 s35, s7, s3
	s_lshl_b64 s[0:1], s[0:1], 1
	s_add_u32 s36, s4, s0
	s_addc_u32 s37, s5, s1
	s_abs_i32 s66, s16
	v_cvt_f32_u32_e32 v5, s66
	s_abs_i32 s70, s17
	v_cvt_f32_u32_e32 v9, s70
	s_sub_i32 s4, 0, s66
	v_rcp_iflag_f32_e32 v8, v5
	v_mov_b32_e32 v3, s10
	v_rcp_iflag_f32_e32 v9, v9
	s_mul_i32 s0, s38, s27
	v_mul_f32_e32 v8, 0x4f7ffffe, v8
	v_cvt_u32_f32_e32 v8, v8
	v_mul_lo_u32 v7, s26, v7
	v_cndmask_b32_e32 v3, v3, v4, vcc
	v_add_u32_e32 v4, s0, v6
	v_mul_lo_u32 v10, s4, v8
	v_mul_hi_u32 v10, v8, v10
	v_add_u32_e32 v26, v8, v10
	v_mul_f32_e32 v8, 0x4f7ffffe, v9
	v_cvt_u32_f32_e32 v8, v8
	s_sub_i32 s4, 0, s70
	s_add_i32 s0, s14, -1
	s_add_i32 s2, s15, -1
	v_mul_lo_u32 v9, s4, v8
	s_add_i32 s4, s38, s25
	s_mul_i32 s4, s4, s27
	v_mul_lo_u32 v7, v7, s27
	s_mul_i32 s11, s20, s0
	s_mul_i32 s67, s21, s2
	v_ashrrev_i32_e32 v5, 31, v4
	s_mul_i32 s69, s25, s27
	v_mul_hi_u32 v9, v8, v9
	v_add_u32_e32 v30, s4, v6
	v_lshlrev_b32_e32 v7, 2, v7
	v_lshlrev_b32_e32 v6, 2, v6
	s_not_b32 s65, s11
	v_cmp_lt_i32_e64 s[0:1], v2, v3
	s_not_b32 s68, s67
	v_cmp_gt_i64_e64 s[2:3], s[28:29], v[4:5]
	s_ashr_i32 s71, s16, 31
	v_mov_b32_e32 v27, 0
	s_ashr_i32 s72, s17, 31
	v_add_u32_e32 v28, v8, v9
	v_mul_lo_u32 v29, s22, v4
	s_mul_i32 s22, s69, s22
	v_add3_u32 v31, v7, v6, 0
	s_lshl_b32 s25, s27, 2
	s_mov_b64 s[14:15], 0
	s_movk_i32 s73, 0x7fff
	v_mov_b32_e32 v32, 0x7fc0
                                        ; implicit-def: $vgpr33
                                        ; implicit-def: $vgpr34
                                        ; implicit-def: $vgpr35
                                        ; implicit-def: $vgpr36
	s_branch .LBB25_13
.LBB25_11:                              ;   in Loop: Header=BB25_13 Depth=1
	s_or_b64 exec, exec, s[20:21]
.LBB25_12:                              ;   in Loop: Header=BB25_13 Depth=1
	s_or_b64 exec, exec, s[16:17]
	v_add_u32_e32 v0, s33, v0
	v_cmp_ge_i32_e32 vcc, v0, v1
	s_or_b64 s[14:15], vcc, s[14:15]
	s_andn2_b64 exec, exec, s[14:15]
	s_cbranch_execz .LBB25_59
.LBB25_13:                              ; =>This Loop Header: Depth=1
                                        ;     Child Loop BB25_19 Depth 2
                                        ;       Child Loop BB25_28 Depth 3
                                        ;         Child Loop BB25_31 Depth 4
                                        ;           Child Loop BB25_34 Depth 5
                                        ;       Child Loop BB25_40 Depth 3
                                        ;       Child Loop BB25_51 Depth 3
	;; [unrolled: 1-line block ×3, first 2 shown]
	v_add_u32_e32 v6, s18, v0
	v_cmp_lt_i32_e32 vcc, s11, v6
	v_mov_b32_e32 v37, 0
	s_and_saveexec_b64 s[4:5], vcc
	s_cbranch_execz .LBB25_15
; %bb.14:                               ;   in Loop: Header=BB25_13 Depth=1
	v_add_u32_e32 v7, s65, v6
	v_sub_u32_e32 v9, 0, v7
	v_ashrrev_i32_e32 v8, 31, v7
	v_max_i32_e32 v7, v7, v9
	v_mul_hi_u32 v9, v7, v26
	v_mul_lo_u32 v10, v9, s66
	v_sub_u32_e32 v7, v7, v10
	v_add_u32_e32 v10, 1, v9
	v_cmp_le_u32_e32 vcc, s66, v7
	v_xor_b32_e32 v8, s71, v8
	s_nop 0
	v_cndmask_b32_e32 v9, v9, v10, vcc
	v_subrev_u32_e32 v10, s66, v7
	v_cndmask_b32_e32 v7, v7, v10, vcc
	v_add_u32_e32 v10, 1, v9
	v_cmp_le_u32_e32 vcc, s66, v7
	s_nop 1
	v_cndmask_b32_e32 v7, v9, v10, vcc
	v_xor_b32_e32 v7, v7, v8
	v_sub_u32_e32 v7, v7, v8
	v_add_u32_e32 v37, 1, v7
.LBB25_15:                              ;   in Loop: Header=BB25_13 Depth=1
	s_or_b64 exec, exec, s[4:5]
	s_and_saveexec_b64 s[16:17], s[0:1]
	s_cbranch_execz .LBB25_12
; %bb.16:                               ;   in Loop: Header=BB25_13 Depth=1
	v_sub_u32_e32 v8, 0, v6
	v_ashrrev_i32_e32 v7, 31, v6
	v_max_i32_e32 v6, v6, v8
	v_mul_hi_u32 v8, v6, v26
	v_mul_lo_u32 v9, v8, s66
	v_sub_u32_e32 v6, v6, v9
	v_add_u32_e32 v9, 1, v8
	v_cmp_le_u32_e32 vcc, s66, v6
	v_xor_b32_e32 v7, s71, v7
	v_add_u32_e32 v12, 1, v37
	v_cndmask_b32_e32 v8, v8, v9, vcc
	v_subrev_u32_e32 v9, s66, v6
	v_cndmask_b32_e32 v6, v6, v9, vcc
	v_add_u32_e32 v9, 1, v8
	v_cmp_le_u32_e32 vcc, s66, v6
	v_mul_lo_u32 v39, v0, s10
	v_mul_lo_u32 v40, s23, v12
	v_cndmask_b32_e32 v6, v8, v9, vcc
	v_xor_b32_e32 v6, v6, v7
	v_sub_u32_e32 v6, v6, v7
	v_add_u32_e32 v6, 1, v6
	v_min_i32_e32 v38, s12, v6
	v_sub_u32_e32 v6, v38, v37
	v_cmp_gt_i32_e64 s[8:9], 3, v6
	v_mul_lo_u32 v6, v37, s23
	v_cmp_eq_u32_e32 vcc, v12, v38
	v_ashrrev_i32_e32 v7, 31, v6
	v_add_u32_e32 v10, s23, v6
	v_cmp_gt_i32_e64 s[4:5], v38, v37
	v_lshl_add_u64 v[8:9], v[6:7], 3, s[34:35]
	v_cmp_lt_i32_e64 s[6:7], v12, v38
	v_ashrrev_i32_e32 v11, 31, v10
	s_mov_b64 s[20:21], 0
	s_xor_b64 s[26:27], vcc, -1
	s_xor_b64 s[38:39], s[8:9], -1
	v_mov_b32_e32 v41, v2
	s_branch .LBB25_19
.LBB25_17:                              ;   in Loop: Header=BB25_19 Depth=2
	s_or_b64 exec, exec, s[40:41]
.LBB25_18:                              ;   in Loop: Header=BB25_19 Depth=2
	s_or_b64 exec, exec, s[8:9]
	v_add_u32_e32 v41, s64, v41
	v_cmp_ge_i32_e32 vcc, v41, v3
	s_or_b64 s[20:21], vcc, s[20:21]
	s_andn2_b64 exec, exec, s[20:21]
	s_cbranch_execz .LBB25_11
.LBB25_19:                              ;   Parent Loop BB25_13 Depth=1
                                        ; =>  This Loop Header: Depth=2
                                        ;       Child Loop BB25_28 Depth 3
                                        ;         Child Loop BB25_31 Depth 4
                                        ;           Child Loop BB25_34 Depth 5
                                        ;       Child Loop BB25_40 Depth 3
                                        ;       Child Loop BB25_51 Depth 3
	;; [unrolled: 1-line block ×3, first 2 shown]
	v_add_u32_e32 v12, s19, v41
	v_cmp_lt_i32_e32 vcc, s67, v12
	v_mov_b32_e32 v24, 0
	s_and_saveexec_b64 s[8:9], vcc
	s_cbranch_execz .LBB25_21
; %bb.20:                               ;   in Loop: Header=BB25_19 Depth=2
	v_add_u32_e32 v13, s68, v12
	v_sub_u32_e32 v15, 0, v13
	v_ashrrev_i32_e32 v14, 31, v13
	v_max_i32_e32 v13, v13, v15
	v_mul_hi_u32 v15, v13, v28
	v_mul_lo_u32 v16, v15, s70
	v_sub_u32_e32 v13, v13, v16
	v_add_u32_e32 v16, 1, v15
	v_cmp_le_u32_e32 vcc, s70, v13
	v_xor_b32_e32 v14, s72, v14
	s_nop 0
	v_cndmask_b32_e32 v15, v15, v16, vcc
	v_subrev_u32_e32 v16, s70, v13
	v_cndmask_b32_e32 v13, v13, v16, vcc
	v_add_u32_e32 v16, 1, v15
	v_cmp_le_u32_e32 vcc, s70, v13
	s_nop 1
	v_cndmask_b32_e32 v13, v15, v16, vcc
	v_xor_b32_e32 v13, v13, v14
	v_sub_u32_e32 v13, v13, v14
	v_add_u32_e32 v24, 1, v13
.LBB25_21:                              ;   in Loop: Header=BB25_19 Depth=2
	s_or_b64 exec, exec, s[8:9]
	v_sub_u32_e32 v14, 0, v12
	v_ashrrev_i32_e32 v13, 31, v12
	v_max_i32_e32 v12, v12, v14
	v_mul_hi_u32 v14, v12, v28
	v_mul_lo_u32 v15, v14, s70
	v_sub_u32_e32 v12, v12, v15
	v_add_u32_e32 v15, 1, v14
	v_cmp_le_u32_e32 vcc, s70, v12
	v_xor_b32_e32 v13, s72, v13
	s_nop 0
	v_cndmask_b32_e32 v14, v14, v15, vcc
	v_subrev_u32_e32 v15, s70, v12
	v_cndmask_b32_e32 v12, v12, v15, vcc
	v_add_u32_e32 v15, 1, v14
	v_cmp_le_u32_e32 vcc, s70, v12
	s_nop 1
	v_cndmask_b32_e32 v12, v14, v15, vcc
	v_xor_b32_e32 v12, v12, v13
	v_sub_u32_e32 v12, v12, v13
	v_add_u32_e32 v12, 1, v12
	v_min_i32_e32 v25, s13, v12
	v_add_u32_e32 v13, 1, v24
	v_cmp_ne_u32_e32 vcc, v13, v25
	v_add_u32_e32 v12, v41, v39
	s_or_b64 s[8:9], s[26:27], vcc
	s_and_saveexec_b64 s[40:41], s[8:9]
	s_xor_b64 s[40:41], exec, s[40:41]
	s_cbranch_execz .LBB25_53
; %bb.22:                               ;   in Loop: Header=BB25_19 Depth=2
	v_sub_u32_e32 v14, v25, v24
	v_cmp_lt_i32_e32 vcc, 2, v14
	s_or_b64 s[8:9], s[38:39], vcc
	s_and_saveexec_b64 s[42:43], s[8:9]
	s_xor_b64 s[42:43], exec, s[42:43]
	s_cbranch_execnz .LBB25_25
; %bb.23:                               ;   in Loop: Header=BB25_19 Depth=2
	s_andn2_saveexec_b64 s[42:43], s[42:43]
	s_cbranch_execnz .LBB25_37
.LBB25_24:                              ;   in Loop: Header=BB25_19 Depth=2
	s_or_b64 exec, exec, s[42:43]
	s_and_saveexec_b64 s[8:9], s[2:3]
	s_cbranch_execnz .LBB25_50
	s_branch .LBB25_52
.LBB25_25:                              ;   in Loop: Header=BB25_19 Depth=2
	s_and_saveexec_b64 s[44:45], s[4:5]
	s_cbranch_execz .LBB25_36
; %bb.26:                               ;   in Loop: Header=BB25_19 Depth=2
	v_mad_u64_u32 v[14:15], s[8:9], s24, v24, v[6:7]
	v_cmp_gt_i32_e32 vcc, v25, v24
	v_ashrrev_i32_e32 v13, 31, v12
	s_mov_b64 s[46:47], 0
	v_mov_b32_e32 v15, v37
	s_branch .LBB25_28
.LBB25_27:                              ;   in Loop: Header=BB25_28 Depth=3
	s_or_b64 exec, exec, s[48:49]
	v_add_u32_e32 v15, 1, v15
	v_cmp_ge_i32_e64 s[8:9], v15, v38
	s_or_b64 s[46:47], s[8:9], s[46:47]
	v_add_u32_e32 v14, s23, v14
	s_andn2_b64 exec, exec, s[46:47]
	s_cbranch_execz .LBB25_36
.LBB25_28:                              ;   Parent Loop BB25_13 Depth=1
                                        ;     Parent Loop BB25_19 Depth=2
                                        ; =>    This Loop Header: Depth=3
                                        ;         Child Loop BB25_31 Depth 4
                                        ;           Child Loop BB25_34 Depth 5
	s_and_saveexec_b64 s[48:49], vcc
	s_cbranch_execz .LBB25_27
; %bb.29:                               ;   in Loop: Header=BB25_28 Depth=3
	v_mul_lo_u32 v16, v15, s23
	v_ashrrev_i32_e32 v17, 31, v16
	v_lshl_add_u64 v[16:17], v[16:17], 3, s[34:35]
	s_mov_b64 s[50:51], 0
	v_mov_b32_e32 v42, v14
	v_mov_b32_e32 v43, v24
	s_branch .LBB25_31
.LBB25_30:                              ;   in Loop: Header=BB25_31 Depth=4
	s_or_b64 exec, exec, s[52:53]
	v_add_u32_e32 v43, 1, v43
	v_cmp_ge_i32_e64 s[8:9], v43, v25
	s_or_b64 s[50:51], s[8:9], s[50:51]
	v_add_u32_e32 v42, s24, v42
	s_andn2_b64 exec, exec, s[50:51]
	s_cbranch_execz .LBB25_27
.LBB25_31:                              ;   Parent Loop BB25_13 Depth=1
                                        ;     Parent Loop BB25_19 Depth=2
                                        ;       Parent Loop BB25_28 Depth=3
                                        ; =>      This Loop Header: Depth=4
                                        ;           Child Loop BB25_34 Depth 5
	s_and_saveexec_b64 s[52:53], s[2:3]
	s_cbranch_execz .LBB25_30
; %bb.32:                               ;   in Loop: Header=BB25_31 Depth=4
	v_mul_lo_u32 v18, v43, s24
	v_ashrrev_i32_e32 v19, 31, v18
	v_lshl_add_u64 v[18:19], v[18:19], 3, v[16:17]
	s_mov_b64 s[54:55], 0
	v_mov_b32_e32 v44, v31
	v_mov_b32_e32 v20, v30
	;; [unrolled: 1-line block ×3, first 2 shown]
	s_branch .LBB25_34
.LBB25_33:                              ;   in Loop: Header=BB25_34 Depth=5
	s_or_b64 exec, exec, s[56:57]
	v_ashrrev_i32_e32 v21, 31, v20
	v_cmp_le_i64_e64 s[8:9], s[28:29], v[20:21]
	v_add_u32_e32 v22, s22, v22
	v_add_u32_e32 v20, s69, v20
	s_or_b64 s[54:55], s[8:9], s[54:55]
	v_add_u32_e32 v44, s25, v44
	s_andn2_b64 exec, exec, s[54:55]
	s_cbranch_execz .LBB25_30
.LBB25_34:                              ;   Parent Loop BB25_13 Depth=1
                                        ;     Parent Loop BB25_19 Depth=2
                                        ;       Parent Loop BB25_28 Depth=3
                                        ;         Parent Loop BB25_31 Depth=4
                                        ; =>        This Inner Loop Header: Depth=5
	v_ashrrev_i32_e32 v23, 31, v22
	v_lshl_add_u64 v[46:47], v[22:23], 3, v[18:19]
	global_load_dwordx2 v[46:47], v[46:47], off
	s_waitcnt vmcnt(0)
	v_cmp_eq_u64_e64 s[8:9], v[46:47], v[12:13]
	s_and_saveexec_b64 s[56:57], s[8:9]
	s_cbranch_execz .LBB25_33
; %bb.35:                               ;   in Loop: Header=BB25_34 Depth=5
	v_add_u32_e32 v46, v42, v22
	v_ashrrev_i32_e32 v47, 31, v46
	v_lshl_add_u64 v[46:47], v[46:47], 1, s[36:37]
	global_load_ushort v21, v[46:47], off
	ds_read_b32 v23, v44
	s_waitcnt vmcnt(0)
	v_lshlrev_b32_e32 v21, 16, v21
	s_waitcnt lgkmcnt(0)
	v_add_f32_e32 v21, v23, v21
	ds_write_b32 v44, v21
	s_branch .LBB25_33
.LBB25_36:                              ;   in Loop: Header=BB25_19 Depth=2
	s_or_b64 exec, exec, s[44:45]
                                        ; implicit-def: $vgpr25
                                        ; implicit-def: $vgpr24
                                        ; implicit-def: $vgpr13
	s_andn2_saveexec_b64 s[42:43], s[42:43]
	s_cbranch_execz .LBB25_24
.LBB25_37:                              ;   in Loop: Header=BB25_19 Depth=2
	s_and_saveexec_b64 s[44:45], s[2:3]
	s_cbranch_execz .LBB25_49
; %bb.38:                               ;   in Loop: Header=BB25_19 Depth=2
	v_mul_lo_u32 v14, v24, s24
	v_cmp_gt_i32_e32 vcc, v25, v24
	v_cmp_lt_i32_e64 s[8:9], v13, v25
	v_add_u32_e32 v16, s24, v14
	s_and_b64 s[46:47], s[4:5], vcc
	v_ashrrev_i32_e32 v15, 31, v14
	s_and_b64 s[48:49], s[4:5], s[8:9]
	v_ashrrev_i32_e32 v17, 31, v16
	s_and_b64 s[50:51], s[6:7], vcc
	s_and_b64 s[8:9], s[6:7], s[8:9]
	v_add_u32_e32 v13, v40, v16
	v_add_u32_e32 v42, v40, v14
	;; [unrolled: 1-line block ×4, first 2 shown]
	s_mov_b64 s[52:53], 0
	v_mov_b32_e32 v45, v31
	v_mov_b32_e32 v18, v30
	;; [unrolled: 1-line block ×3, first 2 shown]
	s_branch .LBB25_40
.LBB25_39:                              ;   in Loop: Header=BB25_40 Depth=3
	s_or_b64 exec, exec, s[62:63]
	s_waitcnt vmcnt(0)
	v_lshlrev_b32_e32 v19, 16, v36
	v_add_f32_e32 v19, 0, v19
	v_cndmask_b32_e64 v19, 0, v19, s[54:55]
	v_lshlrev_b32_e32 v21, 16, v35
	v_add_f32_e32 v21, v19, v21
	v_cndmask_b32_e64 v19, v19, v21, s[58:59]
	v_lshlrev_b32_e32 v21, 16, v34
	ds_read_b32 v22, v45
	v_add_f32_e32 v21, v19, v21
	v_cndmask_b32_e64 v19, v19, v21, s[56:57]
	v_lshlrev_b32_e32 v21, 16, v33
	v_add_f32_e32 v21, v19, v21
	v_cndmask_b32_e64 v19, v19, v21, s[60:61]
	s_waitcnt lgkmcnt(0)
	v_add_f32_e32 v19, v19, v22
	ds_write_b32 v45, v19
	v_ashrrev_i32_e32 v19, 31, v18
	v_cmp_le_i64_e32 vcc, s[28:29], v[18:19]
	v_add_u32_e32 v20, s22, v20
	v_add_u32_e32 v18, s69, v18
	s_or_b64 s[52:53], vcc, s[52:53]
	v_add_u32_e32 v45, s25, v45
	s_andn2_b64 exec, exec, s[52:53]
	s_cbranch_execz .LBB25_48
.LBB25_40:                              ;   Parent Loop BB25_13 Depth=1
                                        ;     Parent Loop BB25_19 Depth=2
                                        ; =>    This Inner Loop Header: Depth=3
	v_ashrrev_i32_e32 v21, 31, v20
	v_lshl_add_u64 v[22:23], v[20:21], 3, s[34:35]
	v_lshl_add_u64 v[24:25], v[6:7], 3, v[22:23]
	s_mov_b64 s[54:55], 0
	s_and_saveexec_b64 s[56:57], s[46:47]
	s_cbranch_execz .LBB25_42
; %bb.41:                               ;   in Loop: Header=BB25_40 Depth=3
	v_lshl_add_u64 v[46:47], v[14:15], 3, v[24:25]
	global_load_dword v19, v[46:47], off
	v_add_u32_e32 v46, v44, v20
	v_ashrrev_i32_e32 v47, 31, v46
	v_lshl_add_u64 v[46:47], v[46:47], 1, s[36:37]
	global_load_ushort v36, v[46:47], off
	s_waitcnt vmcnt(1)
	v_cmp_eq_u32_e32 vcc, v12, v19
	s_and_b64 s[54:55], vcc, exec
.LBB25_42:                              ;   in Loop: Header=BB25_40 Depth=3
	s_or_b64 exec, exec, s[56:57]
	s_mov_b64 s[56:57], 0
	s_mov_b64 s[58:59], 0
	s_and_saveexec_b64 s[60:61], s[48:49]
	s_cbranch_execnz .LBB25_45
; %bb.43:                               ;   in Loop: Header=BB25_40 Depth=3
	s_or_b64 exec, exec, s[60:61]
	v_lshl_add_u64 v[22:23], v[10:11], 3, v[22:23]
	s_and_saveexec_b64 s[60:61], s[50:51]
	s_cbranch_execnz .LBB25_46
.LBB25_44:                              ;   in Loop: Header=BB25_40 Depth=3
	s_or_b64 exec, exec, s[60:61]
	s_mov_b64 s[60:61], 0
	s_and_saveexec_b64 s[62:63], s[8:9]
	s_cbranch_execz .LBB25_39
	s_branch .LBB25_47
.LBB25_45:                              ;   in Loop: Header=BB25_40 Depth=3
	v_lshl_add_u64 v[24:25], v[16:17], 3, v[24:25]
	global_load_dword v19, v[24:25], off
	v_add_u32_e32 v24, v43, v20
	v_ashrrev_i32_e32 v25, 31, v24
	v_lshl_add_u64 v[24:25], v[24:25], 1, s[36:37]
	global_load_ushort v35, v[24:25], off
	s_waitcnt vmcnt(1)
	v_cmp_eq_u32_e32 vcc, v12, v19
	s_and_b64 s[58:59], vcc, exec
	s_or_b64 exec, exec, s[60:61]
	v_lshl_add_u64 v[22:23], v[10:11], 3, v[22:23]
	s_and_saveexec_b64 s[60:61], s[50:51]
	s_cbranch_execz .LBB25_44
.LBB25_46:                              ;   in Loop: Header=BB25_40 Depth=3
	v_lshl_add_u64 v[24:25], v[14:15], 3, v[22:23]
	global_load_dword v19, v[24:25], off
	v_add_u32_e32 v24, v42, v20
	v_ashrrev_i32_e32 v25, 31, v24
	v_lshl_add_u64 v[24:25], v[24:25], 1, s[36:37]
	global_load_ushort v34, v[24:25], off
	s_waitcnt vmcnt(1)
	v_cmp_eq_u32_e32 vcc, v12, v19
	s_and_b64 s[56:57], vcc, exec
	s_or_b64 exec, exec, s[60:61]
	s_mov_b64 s[60:61], 0
	s_and_saveexec_b64 s[62:63], s[8:9]
	s_cbranch_execz .LBB25_39
.LBB25_47:                              ;   in Loop: Header=BB25_40 Depth=3
	v_lshl_add_u64 v[22:23], v[16:17], 3, v[22:23]
	global_load_dword v19, v[22:23], off
	v_add_u32_e32 v22, v13, v20
	v_ashrrev_i32_e32 v23, 31, v22
	v_lshl_add_u64 v[22:23], v[22:23], 1, s[36:37]
	global_load_ushort v33, v[22:23], off
	s_waitcnt vmcnt(1)
	v_cmp_eq_u32_e32 vcc, v12, v19
	s_and_b64 s[60:61], vcc, exec
	s_branch .LBB25_39
.LBB25_48:                              ;   in Loop: Header=BB25_19 Depth=2
	s_or_b64 exec, exec, s[52:53]
.LBB25_49:                              ;   in Loop: Header=BB25_19 Depth=2
	s_or_b64 exec, exec, s[44:45]
	s_or_b64 exec, exec, s[42:43]
	s_and_saveexec_b64 s[8:9], s[2:3]
	s_cbranch_execz .LBB25_52
.LBB25_50:                              ;   in Loop: Header=BB25_19 Depth=2
	v_ashrrev_i32_e32 v13, 31, v12
	v_mul_lo_u32 v14, s29, v12
	v_mul_lo_u32 v15, s28, v13
	v_mad_u64_u32 v[12:13], s[42:43], s28, v12, 0
	v_add3_u32 v13, v13, v15, v14
	v_lshl_add_u64 v[12:13], v[12:13], 1, s[30:31]
	s_mov_b64 s[42:43], 0
	v_mov_b32_e32 v18, v31
	v_mov_b32_e32 v14, v30
	v_mov_b64_e32 v[16:17], v[4:5]
.LBB25_51:                              ;   Parent Loop BB25_13 Depth=1
                                        ;     Parent Loop BB25_19 Depth=2
                                        ; =>    This Inner Loop Header: Depth=3
	ds_read_b32 v19, v18
	v_ashrrev_i32_e32 v15, 31, v14
	v_lshl_add_u64 v[20:21], v[16:17], 1, v[12:13]
	v_mov_b64_e32 v[16:17], v[14:15]
	v_cmp_le_i64_e32 vcc, s[28:29], v[14:15]
	s_waitcnt lgkmcnt(0)
	v_bfe_u32 v15, v19, 16, 1
	s_or_b64 s[42:43], vcc, s[42:43]
	v_cmp_o_f32_e32 vcc, v19, v19
	v_add3_u32 v15, v19, v15, s73
	ds_write_b32 v18, v27
	v_add_u32_e32 v18, s25, v18
	v_add_u32_e32 v14, s69, v14
	v_cndmask_b32_sdwa v15, v32, v15, vcc dst_sel:DWORD dst_unused:UNUSED_PAD src0_sel:DWORD src1_sel:WORD_1
	global_store_short v[20:21], v15, off
	s_andn2_b64 exec, exec, s[42:43]
	s_cbranch_execnz .LBB25_51
.LBB25_52:                              ;   in Loop: Header=BB25_19 Depth=2
	s_or_b64 exec, exec, s[8:9]
                                        ; implicit-def: $vgpr24
                                        ; implicit-def: $vgpr12
.LBB25_53:                              ;   in Loop: Header=BB25_19 Depth=2
	s_andn2_saveexec_b64 s[8:9], s[40:41]
	s_cbranch_execz .LBB25_18
; %bb.54:                               ;   in Loop: Header=BB25_19 Depth=2
	s_and_saveexec_b64 s[40:41], s[2:3]
	s_cbranch_execz .LBB25_17
; %bb.55:                               ;   in Loop: Header=BB25_19 Depth=2
	v_mul_lo_u32 v18, v24, s24
	v_ashrrev_i32_e32 v19, 31, v18
	v_ashrrev_i32_e32 v13, 31, v12
	v_lshl_add_u64 v[14:15], v[18:19], 3, v[8:9]
	v_mul_lo_u32 v19, s29, v12
	v_mul_lo_u32 v20, s28, v13
	v_mad_u64_u32 v[16:17], s[42:43], s28, v12, 0
	v_add3_u32 v17, v17, v20, v19
	v_lshl_add_u64 v[16:17], v[16:17], 1, s[30:31]
	v_add_u32_e32 v24, v18, v6
	s_mov_b64 s[42:43], 0
	v_mov_b32_e32 v18, v30
	v_mov_b32_e32 v20, v29
	v_mov_b64_e32 v[22:23], v[4:5]
	s_branch .LBB25_57
.LBB25_56:                              ;   in Loop: Header=BB25_57 Depth=3
	s_or_b64 exec, exec, s[44:45]
	v_ashrrev_i32_e32 v19, 31, v18
	v_cmp_le_i64_e32 vcc, s[28:29], v[18:19]
	v_mov_b64_e32 v[22:23], v[18:19]
	v_add_u32_e32 v20, s22, v20
	s_or_b64 s[42:43], vcc, s[42:43]
	v_add_u32_e32 v18, s69, v18
	s_andn2_b64 exec, exec, s[42:43]
	s_cbranch_execz .LBB25_17
.LBB25_57:                              ;   Parent Loop BB25_13 Depth=1
                                        ;     Parent Loop BB25_19 Depth=2
                                        ; =>    This Inner Loop Header: Depth=3
	v_ashrrev_i32_e32 v21, 31, v20
	v_lshl_add_u64 v[42:43], v[20:21], 3, v[14:15]
	global_load_dwordx2 v[42:43], v[42:43], off
	s_waitcnt vmcnt(0)
	v_cmp_eq_u64_e32 vcc, v[42:43], v[12:13]
	s_and_saveexec_b64 s[44:45], vcc
	s_cbranch_execz .LBB25_56
; %bb.58:                               ;   in Loop: Header=BB25_57 Depth=3
	v_add_u32_e32 v42, v24, v20
	v_ashrrev_i32_e32 v43, 31, v42
	v_lshl_add_u64 v[42:43], v[42:43], 1, s[36:37]
	global_load_ushort v19, v[42:43], off
	v_lshl_add_u64 v[22:23], v[22:23], 1, v[16:17]
	s_waitcnt vmcnt(0)
	global_store_short v[22:23], v19, off
	s_branch .LBB25_56
.LBB25_59:
	s_endpgm
.LBB25_60:
                                        ; implicit-def: $sgpr6_sgpr7
	s_andn2_b64 vcc, exec, s[34:35]
	s_cbranch_vccz .LBB25_5
	s_branch .LBB25_6
.LBB25_61:
                                        ; implicit-def: $sgpr36_sgpr37
	s_andn2_b64 vcc, exec, s[34:35]
	s_cbranch_vccz .LBB25_8
	s_branch .LBB25_9
	.section	.rodata,"a",@progbits
	.p2align	6, 0x0
	.amdhsa_kernel _ZN2at6native12_GLOBAL__N_122max_pool_backward_nhwcIN3c108BFloat16EfEEvPKT_PKlillliiiiiiiiiiiiiiiPS5_
		.amdhsa_group_segment_fixed_size 0
		.amdhsa_private_segment_fixed_size 0
		.amdhsa_kernarg_size 376
		.amdhsa_user_sgpr_count 2
		.amdhsa_user_sgpr_dispatch_ptr 0
		.amdhsa_user_sgpr_queue_ptr 0
		.amdhsa_user_sgpr_kernarg_segment_ptr 1
		.amdhsa_user_sgpr_dispatch_id 0
		.amdhsa_user_sgpr_kernarg_preload_length 0
		.amdhsa_user_sgpr_kernarg_preload_offset 0
		.amdhsa_user_sgpr_private_segment_size 0
		.amdhsa_uses_dynamic_stack 0
		.amdhsa_enable_private_segment 0
		.amdhsa_system_sgpr_workgroup_id_x 1
		.amdhsa_system_sgpr_workgroup_id_y 1
		.amdhsa_system_sgpr_workgroup_id_z 1
		.amdhsa_system_sgpr_workgroup_info 0
		.amdhsa_system_vgpr_workitem_id 2
		.amdhsa_next_free_vgpr 48
		.amdhsa_next_free_sgpr 74
		.amdhsa_accum_offset 48
		.amdhsa_reserve_vcc 1
		.amdhsa_float_round_mode_32 0
		.amdhsa_float_round_mode_16_64 0
		.amdhsa_float_denorm_mode_32 3
		.amdhsa_float_denorm_mode_16_64 3
		.amdhsa_dx10_clamp 1
		.amdhsa_ieee_mode 1
		.amdhsa_fp16_overflow 0
		.amdhsa_tg_split 0
		.amdhsa_exception_fp_ieee_invalid_op 0
		.amdhsa_exception_fp_denorm_src 0
		.amdhsa_exception_fp_ieee_div_zero 0
		.amdhsa_exception_fp_ieee_overflow 0
		.amdhsa_exception_fp_ieee_underflow 0
		.amdhsa_exception_fp_ieee_inexact 0
		.amdhsa_exception_int_div_zero 0
	.end_amdhsa_kernel
	.section	.text._ZN2at6native12_GLOBAL__N_122max_pool_backward_nhwcIN3c108BFloat16EfEEvPKT_PKlillliiiiiiiiiiiiiiiPS5_,"axG",@progbits,_ZN2at6native12_GLOBAL__N_122max_pool_backward_nhwcIN3c108BFloat16EfEEvPKT_PKlillliiiiiiiiiiiiiiiPS5_,comdat
.Lfunc_end25:
	.size	_ZN2at6native12_GLOBAL__N_122max_pool_backward_nhwcIN3c108BFloat16EfEEvPKT_PKlillliiiiiiiiiiiiiiiPS5_, .Lfunc_end25-_ZN2at6native12_GLOBAL__N_122max_pool_backward_nhwcIN3c108BFloat16EfEEvPKT_PKlillliiiiiiiiiiiiiiiPS5_
                                        ; -- End function
	.set _ZN2at6native12_GLOBAL__N_122max_pool_backward_nhwcIN3c108BFloat16EfEEvPKT_PKlillliiiiiiiiiiiiiiiPS5_.num_vgpr, 48
	.set _ZN2at6native12_GLOBAL__N_122max_pool_backward_nhwcIN3c108BFloat16EfEEvPKT_PKlillliiiiiiiiiiiiiiiPS5_.num_agpr, 0
	.set _ZN2at6native12_GLOBAL__N_122max_pool_backward_nhwcIN3c108BFloat16EfEEvPKT_PKlillliiiiiiiiiiiiiiiPS5_.numbered_sgpr, 74
	.set _ZN2at6native12_GLOBAL__N_122max_pool_backward_nhwcIN3c108BFloat16EfEEvPKT_PKlillliiiiiiiiiiiiiiiPS5_.num_named_barrier, 0
	.set _ZN2at6native12_GLOBAL__N_122max_pool_backward_nhwcIN3c108BFloat16EfEEvPKT_PKlillliiiiiiiiiiiiiiiPS5_.private_seg_size, 0
	.set _ZN2at6native12_GLOBAL__N_122max_pool_backward_nhwcIN3c108BFloat16EfEEvPKT_PKlillliiiiiiiiiiiiiiiPS5_.uses_vcc, 1
	.set _ZN2at6native12_GLOBAL__N_122max_pool_backward_nhwcIN3c108BFloat16EfEEvPKT_PKlillliiiiiiiiiiiiiiiPS5_.uses_flat_scratch, 0
	.set _ZN2at6native12_GLOBAL__N_122max_pool_backward_nhwcIN3c108BFloat16EfEEvPKT_PKlillliiiiiiiiiiiiiiiPS5_.has_dyn_sized_stack, 0
	.set _ZN2at6native12_GLOBAL__N_122max_pool_backward_nhwcIN3c108BFloat16EfEEvPKT_PKlillliiiiiiiiiiiiiiiPS5_.has_recursion, 0
	.set _ZN2at6native12_GLOBAL__N_122max_pool_backward_nhwcIN3c108BFloat16EfEEvPKT_PKlillliiiiiiiiiiiiiiiPS5_.has_indirect_call, 0
	.section	.AMDGPU.csdata,"",@progbits
; Kernel info:
; codeLenInByte = 4116
; TotalNumSgprs: 80
; NumVgprs: 48
; NumAgprs: 0
; TotalNumVgprs: 48
; ScratchSize: 0
; MemoryBound: 0
; FloatMode: 240
; IeeeMode: 1
; LDSByteSize: 0 bytes/workgroup (compile time only)
; SGPRBlocks: 9
; VGPRBlocks: 5
; NumSGPRsForWavesPerEU: 80
; NumVGPRsForWavesPerEU: 48
; AccumOffset: 48
; Occupancy: 8
; WaveLimiterHint : 0
; COMPUTE_PGM_RSRC2:SCRATCH_EN: 0
; COMPUTE_PGM_RSRC2:USER_SGPR: 2
; COMPUTE_PGM_RSRC2:TRAP_HANDLER: 0
; COMPUTE_PGM_RSRC2:TGID_X_EN: 1
; COMPUTE_PGM_RSRC2:TGID_Y_EN: 1
; COMPUTE_PGM_RSRC2:TGID_Z_EN: 1
; COMPUTE_PGM_RSRC2:TIDIG_COMP_CNT: 2
; COMPUTE_PGM_RSRC3_GFX90A:ACCUM_OFFSET: 11
; COMPUTE_PGM_RSRC3_GFX90A:TG_SPLIT: 0
	.section	.text._ZN2at6native12_GLOBAL__N_122max_pool_backward_nchwIN3c108BFloat16EfiEEvPKT_PKlT1_SA_SA_SA_SA_SA_iiiiiiiiPS5_,"axG",@progbits,_ZN2at6native12_GLOBAL__N_122max_pool_backward_nchwIN3c108BFloat16EfiEEvPKT_PKlT1_SA_SA_SA_SA_SA_iiiiiiiiPS5_,comdat
	.globl	_ZN2at6native12_GLOBAL__N_122max_pool_backward_nchwIN3c108BFloat16EfiEEvPKT_PKlT1_SA_SA_SA_SA_SA_iiiiiiiiPS5_ ; -- Begin function _ZN2at6native12_GLOBAL__N_122max_pool_backward_nchwIN3c108BFloat16EfiEEvPKT_PKlT1_SA_SA_SA_SA_SA_iiiiiiiiPS5_
	.p2align	8
	.type	_ZN2at6native12_GLOBAL__N_122max_pool_backward_nchwIN3c108BFloat16EfiEEvPKT_PKlT1_SA_SA_SA_SA_SA_iiiiiiiiPS5_,@function
_ZN2at6native12_GLOBAL__N_122max_pool_backward_nchwIN3c108BFloat16EfiEEvPKT_PKlT1_SA_SA_SA_SA_SA_iiiiiiiiPS5_: ; @_ZN2at6native12_GLOBAL__N_122max_pool_backward_nchwIN3c108BFloat16EfiEEvPKT_PKlT1_SA_SA_SA_SA_SA_iiiiiiiiPS5_
; %bb.0:
	s_load_dword s5, s[0:1], 0x5c
	s_load_dwordx8 s[12:19], s[0:1], 0x10
	s_add_u32 s10, s0, 0x50
	s_addc_u32 s11, s1, 0
	v_mov_b32_e32 v1, 0
	s_waitcnt lgkmcnt(0)
	s_and_b32 s6, s5, 0xffff
	v_mov_b32_e32 v2, s2
	s_mul_i32 s28, s15, s14
	v_mad_u64_u32 v[0:1], s[8:9], s6, v2, v[0:1]
	s_ashr_i32 s29, s28, 31
	v_cmp_gt_i64_e32 vcc, s[28:29], v[0:1]
	s_and_saveexec_b64 s[8:9], vcc
	s_cbranch_execz .LBB26_23
; %bb.1:
	s_load_dwordx8 s[20:27], s[0:1], 0x30
	s_load_dword s7, s[10:11], 0x0
	s_add_i32 s2, s18, -1
	s_add_i32 s5, s19, -1
	s_mul_i32 s53, s17, s16
	s_waitcnt lgkmcnt(0)
	s_mul_i32 s2, s24, s2
	s_mul_i32 s5, s25, s5
	s_not_b32 s14, s2
	s_not_b32 s33, s5
	s_cmp_lt_i32 s3, s12
	s_cselect_b64 s[8:9], -1, 0
	s_cmp_lt_i32 s4, s13
	s_cselect_b64 s[18:19], -1, 0
	s_abs_i32 s46, s15
	v_cvt_f32_u32_e32 v2, s46
	s_abs_i32 s48, s20
	v_cvt_f32_u32_e32 v3, s48
	s_load_dwordx4 s[24:27], s[0:1], 0x0
	s_load_dwordx2 s[30:31], s[0:1], 0x48
	v_rcp_iflag_f32_e32 v2, v2
	s_sub_i32 s0, 0, s46
	s_abs_i32 s49, s21
	v_rcp_iflag_f32_e32 v5, v3
	v_mul_f32_e32 v2, 0x4f7ffffe, v2
	v_cvt_u32_f32_e32 v2, v2
	s_mul_i32 s34, s7, s6
	s_mov_b32 s35, 0
	s_ashr_i32 s47, s15, 31
	v_mul_lo_u32 v4, s0, v2
	v_mul_hi_u32 v4, v2, v4
	v_add_u32_e32 v3, v2, v4
	v_cvt_f32_u32_e32 v2, s49
	v_mul_f32_e32 v4, 0x4f7ffffe, v5
	v_cvt_u32_f32_e32 v4, v4
	s_sub_i32 s0, 0, s48
	v_rcp_iflag_f32_e32 v2, v2
	s_ashr_i32 s50, s20, 31
	v_mul_lo_u32 v5, s0, v4
	v_mul_hi_u32 v5, v4, v5
	v_mul_f32_e32 v2, 0x4f7ffffe, v2
	v_cvt_u32_f32_e32 v2, v2
	s_sub_i32 s0, 0, s49
	v_add_u32_e32 v8, v4, v5
	s_ashr_i32 s51, s21, 31
	v_mul_lo_u32 v4, s0, v2
	v_mul_hi_u32 v4, v2, v4
	s_mul_i32 s0, s3, s13
	v_add_u32_e32 v9, v2, v4
	s_add_i32 s0, s4, s0
	v_cndmask_b32_e64 v2, 0, 1, s[8:9]
	s_mul_i32 s52, s16, s0
	s_mul_i32 s54, s53, s13
	s_mov_b64 s[20:21], 0
	s_movk_i32 s55, 0x7fff
	v_cmp_ne_u32_e64 s[0:1], 1, v2
	v_mov_b32_e32 v10, 0x7fc0
	s_branch .LBB26_3
.LBB26_2:                               ;   in Loop: Header=BB26_3 Depth=1
	v_lshl_add_u64 v[0:1], v[0:1], 0, s[34:35]
	v_cmp_le_i64_e32 vcc, s[28:29], v[0:1]
	s_or_b64 s[20:21], vcc, s[20:21]
	s_andn2_b64 exec, exec, s[20:21]
	s_cbranch_execz .LBB26_23
.LBB26_3:                               ; =>This Loop Header: Depth=1
                                        ;     Child Loop BB26_10 Depth 2
                                        ;       Child Loop BB26_14 Depth 3
                                        ;         Child Loop BB26_18 Depth 4
                                        ;           Child Loop BB26_21 Depth 5
	v_sub_u32_e32 v5, 0, v0
	v_max_i32_e32 v5, v0, v5
	v_mul_hi_u32 v6, v5, v3
	v_mul_lo_u32 v7, v6, s46
	v_sub_u32_e32 v5, v5, v7
	v_add_u32_e32 v7, 1, v6
	v_cmp_le_u32_e32 vcc, s46, v5
	v_ashrrev_i32_e32 v2, 31, v0
	v_xor_b32_e32 v4, s47, v2
	v_cndmask_b32_e32 v6, v6, v7, vcc
	v_subrev_u32_e32 v7, s46, v5
	v_cndmask_b32_e32 v5, v5, v7, vcc
	v_add_u32_e32 v7, 1, v6
	v_cmp_le_u32_e32 vcc, s46, v5
	v_mov_b32_e32 v2, 0
	v_mov_b32_e32 v11, 0
	v_cndmask_b32_e32 v5, v6, v7, vcc
	v_xor_b32_e32 v5, v5, v4
	v_sub_u32_e32 v5, v5, v4
	v_add_u32_e32 v4, s22, v5
	v_cmp_lt_i32_e32 vcc, s2, v4
	s_and_saveexec_b64 s[6:7], vcc
	s_cbranch_execz .LBB26_5
; %bb.4:                                ;   in Loop: Header=BB26_3 Depth=1
	v_add_u32_e32 v6, s14, v4
	v_sub_u32_e32 v11, 0, v6
	v_ashrrev_i32_e32 v7, 31, v6
	v_max_i32_e32 v6, v6, v11
	v_mul_hi_u32 v11, v6, v8
	v_mul_lo_u32 v12, v11, s48
	v_sub_u32_e32 v6, v6, v12
	v_add_u32_e32 v12, 1, v11
	v_cmp_le_u32_e32 vcc, s48, v6
	v_xor_b32_e32 v7, s50, v7
	s_nop 0
	v_cndmask_b32_e32 v11, v11, v12, vcc
	v_subrev_u32_e32 v12, s48, v6
	v_cndmask_b32_e32 v6, v6, v12, vcc
	v_add_u32_e32 v12, 1, v11
	v_cmp_le_u32_e32 vcc, s48, v6
	s_nop 1
	v_cndmask_b32_e32 v6, v11, v12, vcc
	v_xor_b32_e32 v6, v6, v7
	v_sub_u32_e32 v6, v6, v7
	v_add_u32_e32 v11, 1, v6
.LBB26_5:                               ;   in Loop: Header=BB26_3 Depth=1
	s_or_b64 exec, exec, s[6:7]
	v_mul_lo_u32 v5, v5, s15
	v_sub_u32_e32 v5, v0, v5
	v_add_u32_e32 v5, s23, v5
	v_cmp_lt_i32_e32 vcc, s5, v5
	s_and_saveexec_b64 s[6:7], vcc
	s_cbranch_execz .LBB26_7
; %bb.6:                                ;   in Loop: Header=BB26_3 Depth=1
	v_add_u32_e32 v2, s33, v5
	v_sub_u32_e32 v7, 0, v2
	v_ashrrev_i32_e32 v6, 31, v2
	v_max_i32_e32 v2, v2, v7
	v_mul_hi_u32 v7, v2, v9
	v_mul_lo_u32 v12, v7, s49
	v_sub_u32_e32 v2, v2, v12
	v_add_u32_e32 v12, 1, v7
	v_cmp_le_u32_e32 vcc, s49, v2
	v_xor_b32_e32 v6, s51, v6
	s_nop 0
	v_cndmask_b32_e32 v7, v7, v12, vcc
	v_subrev_u32_e32 v12, s49, v2
	v_cndmask_b32_e32 v2, v2, v12, vcc
	v_add_u32_e32 v12, 1, v7
	v_cmp_le_u32_e32 vcc, s49, v2
	s_nop 1
	v_cndmask_b32_e32 v2, v7, v12, vcc
	v_xor_b32_e32 v2, v2, v6
	v_sub_u32_e32 v2, v2, v6
	v_add_u32_e32 v2, 1, v2
.LBB26_7:                               ;   in Loop: Header=BB26_3 Depth=1
	s_or_b64 exec, exec, s[6:7]
	s_and_b64 vcc, exec, s[0:1]
	s_cbranch_vccnz .LBB26_2
; %bb.8:                                ;   in Loop: Header=BB26_3 Depth=1
	v_sub_u32_e32 v7, 0, v5
	v_ashrrev_i32_e32 v6, 31, v5
	v_max_i32_e32 v5, v5, v7
	v_mul_hi_u32 v7, v5, v9
	v_mul_lo_u32 v12, v7, s49
	v_sub_u32_e32 v5, v5, v12
	v_add_u32_e32 v12, 1, v7
	v_cmp_le_u32_e32 vcc, s49, v5
	v_xor_b32_e32 v6, s51, v6
	s_load_dword s56, s[10:11], 0x4
	v_cndmask_b32_e32 v7, v7, v12, vcc
	v_subrev_u32_e32 v12, s49, v5
	v_cndmask_b32_e32 v5, v5, v12, vcc
	v_add_u32_e32 v12, 1, v7
	v_cmp_le_u32_e32 vcc, s49, v5
	s_waitcnt lgkmcnt(0)
	s_mul_i32 s57, s54, s56
	s_mov_b32 s58, s3
	v_cndmask_b32_e32 v5, v7, v12, vcc
	v_xor_b32_e32 v5, v5, v6
	v_sub_u32_e32 v5, v5, v6
	v_add_u32_e32 v5, 1, v5
	v_sub_u32_e32 v6, 0, v4
	v_min_i32_e32 v12, s17, v5
	v_ashrrev_i32_e32 v5, 31, v4
	v_max_i32_e32 v4, v4, v6
	v_mul_hi_u32 v6, v4, v8
	v_mul_lo_u32 v7, v6, s48
	v_sub_u32_e32 v4, v4, v7
	v_add_u32_e32 v7, 1, v6
	v_cmp_le_u32_e32 vcc, s48, v4
	v_xor_b32_e32 v5, s50, v5
	v_cmp_lt_i32_e64 s[6:7], v2, v12
	v_cndmask_b32_e32 v6, v6, v7, vcc
	v_subrev_u32_e32 v7, s48, v4
	v_cndmask_b32_e32 v4, v4, v7, vcc
	v_add_u32_e32 v7, 1, v6
	v_cmp_le_u32_e32 vcc, s48, v4
	s_nop 1
	v_cndmask_b32_e32 v4, v6, v7, vcc
	v_xor_b32_e32 v4, v4, v5
	v_sub_u32_e32 v4, v4, v5
	v_add_u32_e32 v4, 1, v4
	v_min_i32_e32 v13, s16, v4
	v_add_u32_e32 v4, s52, v11
	v_cmp_lt_i32_e64 s[8:9], v11, v13
	v_mad_u64_u32 v[4:5], s[36:37], s17, v4, v[2:3]
	s_branch .LBB26_10
.LBB26_9:                               ;   in Loop: Header=BB26_10 Depth=2
	s_add_i32 s58, s56, s58
	s_cmp_ge_i32 s58, s12
	v_add_u32_e32 v4, s57, v4
	s_cbranch_scc1 .LBB26_2
.LBB26_10:                              ;   Parent Loop BB26_3 Depth=1
                                        ; =>  This Loop Header: Depth=2
                                        ;       Child Loop BB26_14 Depth 3
                                        ;         Child Loop BB26_18 Depth 4
                                        ;           Child Loop BB26_21 Depth 5
	s_andn2_b64 vcc, exec, s[18:19]
	s_cbranch_vccnz .LBB26_9
; %bb.11:                               ;   in Loop: Header=BB26_10 Depth=2
	s_load_dword s59, s[10:11], 0x8
	s_mul_i32 s60, s58, s13
	v_mov_b32_e32 v5, v4
	s_mov_b32 s62, s4
	s_waitcnt lgkmcnt(0)
	s_mul_i32 s61, s53, s59
	s_branch .LBB26_14
.LBB26_12:                              ;   in Loop: Header=BB26_14 Depth=3
	s_or_b64 exec, exec, s[38:39]
.LBB26_13:                              ;   in Loop: Header=BB26_14 Depth=3
	s_or_b64 exec, exec, s[36:37]
	s_add_i32 s36, s62, s60
	v_bfe_u32 v6, v14, 16, 1
	v_add3_u32 v6, v14, v6, s55
	v_cmp_o_f32_e32 vcc, v14, v14
	s_mul_i32 s36, s28, s36
	s_add_i32 s62, s59, s62
	v_cndmask_b32_sdwa v14, v10, v6, vcc dst_sel:DWORD dst_unused:UNUSED_PAD src0_sel:DWORD src1_sel:WORD_1
	v_add_u32_e32 v6, s36, v0
	v_ashrrev_i32_e32 v7, 31, v6
	v_lshl_add_u64 v[6:7], v[6:7], 1, s[30:31]
	s_cmp_ge_i32 s62, s13
	v_add_u32_e32 v5, s61, v5
	global_store_short v[6:7], v14, off
	s_cbranch_scc1 .LBB26_9
.LBB26_14:                              ;   Parent Loop BB26_3 Depth=1
                                        ;     Parent Loop BB26_10 Depth=2
                                        ; =>    This Loop Header: Depth=3
                                        ;         Child Loop BB26_18 Depth 4
                                        ;           Child Loop BB26_21 Depth 5
	v_mov_b32_e32 v14, 0
	s_and_saveexec_b64 s[36:37], s[8:9]
	s_cbranch_execz .LBB26_13
; %bb.15:                               ;   in Loop: Header=BB26_14 Depth=3
	v_mov_b32_e32 v14, 0
	s_mov_b64 s[38:39], 0
	v_mov_b32_e32 v15, v5
	v_mov_b32_e32 v16, v11
	s_branch .LBB26_18
.LBB26_16:                              ;   in Loop: Header=BB26_18 Depth=4
	s_or_b64 exec, exec, s[42:43]
.LBB26_17:                              ;   in Loop: Header=BB26_18 Depth=4
	s_or_b64 exec, exec, s[40:41]
	v_add_u32_e32 v16, 1, v16
	v_cmp_ge_i32_e32 vcc, v16, v13
	s_or_b64 s[38:39], vcc, s[38:39]
	v_add_u32_e32 v15, s17, v15
	s_andn2_b64 exec, exec, s[38:39]
	s_cbranch_execz .LBB26_12
.LBB26_18:                              ;   Parent Loop BB26_3 Depth=1
                                        ;     Parent Loop BB26_10 Depth=2
                                        ;       Parent Loop BB26_14 Depth=3
                                        ; =>      This Loop Header: Depth=4
                                        ;           Child Loop BB26_21 Depth 5
	s_and_saveexec_b64 s[40:41], s[6:7]
	s_cbranch_execz .LBB26_17
; %bb.19:                               ;   in Loop: Header=BB26_18 Depth=4
	s_mov_b64 s[42:43], 0
	v_mov_b32_e32 v6, v15
	v_mov_b32_e32 v17, v2
	s_branch .LBB26_21
.LBB26_20:                              ;   in Loop: Header=BB26_21 Depth=5
	s_or_b64 exec, exec, s[44:45]
	v_add_u32_e32 v17, 1, v17
	v_cmp_ge_i32_e32 vcc, v17, v12
	s_or_b64 s[42:43], vcc, s[42:43]
	v_add_u32_e32 v6, 1, v6
	s_andn2_b64 exec, exec, s[42:43]
	s_cbranch_execz .LBB26_16
.LBB26_21:                              ;   Parent Loop BB26_3 Depth=1
                                        ;     Parent Loop BB26_10 Depth=2
                                        ;       Parent Loop BB26_14 Depth=3
                                        ;         Parent Loop BB26_18 Depth=4
                                        ; =>        This Inner Loop Header: Depth=5
	v_ashrrev_i32_e32 v7, 31, v6
	v_lshl_add_u64 v[18:19], v[6:7], 3, s[26:27]
	global_load_dwordx2 v[18:19], v[18:19], off
	s_waitcnt vmcnt(0)
	v_cmp_eq_u64_e32 vcc, v[18:19], v[0:1]
	s_and_saveexec_b64 s[44:45], vcc
	s_cbranch_execz .LBB26_20
; %bb.22:                               ;   in Loop: Header=BB26_21 Depth=5
	v_lshl_add_u64 v[18:19], v[6:7], 1, s[24:25]
	global_load_ushort v7, v[18:19], off
	s_waitcnt vmcnt(0)
	v_lshlrev_b32_e32 v7, 16, v7
	v_add_f32_e32 v14, v14, v7
	s_branch .LBB26_20
.LBB26_23:
	s_endpgm
	.section	.rodata,"a",@progbits
	.p2align	6, 0x0
	.amdhsa_kernel _ZN2at6native12_GLOBAL__N_122max_pool_backward_nchwIN3c108BFloat16EfiEEvPKT_PKlT1_SA_SA_SA_SA_SA_iiiiiiiiPS5_
		.amdhsa_group_segment_fixed_size 0
		.amdhsa_private_segment_fixed_size 0
		.amdhsa_kernarg_size 336
		.amdhsa_user_sgpr_count 2
		.amdhsa_user_sgpr_dispatch_ptr 0
		.amdhsa_user_sgpr_queue_ptr 0
		.amdhsa_user_sgpr_kernarg_segment_ptr 1
		.amdhsa_user_sgpr_dispatch_id 0
		.amdhsa_user_sgpr_kernarg_preload_length 0
		.amdhsa_user_sgpr_kernarg_preload_offset 0
		.amdhsa_user_sgpr_private_segment_size 0
		.amdhsa_uses_dynamic_stack 0
		.amdhsa_enable_private_segment 0
		.amdhsa_system_sgpr_workgroup_id_x 1
		.amdhsa_system_sgpr_workgroup_id_y 1
		.amdhsa_system_sgpr_workgroup_id_z 1
		.amdhsa_system_sgpr_workgroup_info 0
		.amdhsa_system_vgpr_workitem_id 0
		.amdhsa_next_free_vgpr 20
		.amdhsa_next_free_sgpr 63
		.amdhsa_accum_offset 20
		.amdhsa_reserve_vcc 1
		.amdhsa_float_round_mode_32 0
		.amdhsa_float_round_mode_16_64 0
		.amdhsa_float_denorm_mode_32 3
		.amdhsa_float_denorm_mode_16_64 3
		.amdhsa_dx10_clamp 1
		.amdhsa_ieee_mode 1
		.amdhsa_fp16_overflow 0
		.amdhsa_tg_split 0
		.amdhsa_exception_fp_ieee_invalid_op 0
		.amdhsa_exception_fp_denorm_src 0
		.amdhsa_exception_fp_ieee_div_zero 0
		.amdhsa_exception_fp_ieee_overflow 0
		.amdhsa_exception_fp_ieee_underflow 0
		.amdhsa_exception_fp_ieee_inexact 0
		.amdhsa_exception_int_div_zero 0
	.end_amdhsa_kernel
	.section	.text._ZN2at6native12_GLOBAL__N_122max_pool_backward_nchwIN3c108BFloat16EfiEEvPKT_PKlT1_SA_SA_SA_SA_SA_iiiiiiiiPS5_,"axG",@progbits,_ZN2at6native12_GLOBAL__N_122max_pool_backward_nchwIN3c108BFloat16EfiEEvPKT_PKlT1_SA_SA_SA_SA_SA_iiiiiiiiPS5_,comdat
.Lfunc_end26:
	.size	_ZN2at6native12_GLOBAL__N_122max_pool_backward_nchwIN3c108BFloat16EfiEEvPKT_PKlT1_SA_SA_SA_SA_SA_iiiiiiiiPS5_, .Lfunc_end26-_ZN2at6native12_GLOBAL__N_122max_pool_backward_nchwIN3c108BFloat16EfiEEvPKT_PKlT1_SA_SA_SA_SA_SA_iiiiiiiiPS5_
                                        ; -- End function
	.set _ZN2at6native12_GLOBAL__N_122max_pool_backward_nchwIN3c108BFloat16EfiEEvPKT_PKlT1_SA_SA_SA_SA_SA_iiiiiiiiPS5_.num_vgpr, 20
	.set _ZN2at6native12_GLOBAL__N_122max_pool_backward_nchwIN3c108BFloat16EfiEEvPKT_PKlT1_SA_SA_SA_SA_SA_iiiiiiiiPS5_.num_agpr, 0
	.set _ZN2at6native12_GLOBAL__N_122max_pool_backward_nchwIN3c108BFloat16EfiEEvPKT_PKlT1_SA_SA_SA_SA_SA_iiiiiiiiPS5_.numbered_sgpr, 63
	.set _ZN2at6native12_GLOBAL__N_122max_pool_backward_nchwIN3c108BFloat16EfiEEvPKT_PKlT1_SA_SA_SA_SA_SA_iiiiiiiiPS5_.num_named_barrier, 0
	.set _ZN2at6native12_GLOBAL__N_122max_pool_backward_nchwIN3c108BFloat16EfiEEvPKT_PKlT1_SA_SA_SA_SA_SA_iiiiiiiiPS5_.private_seg_size, 0
	.set _ZN2at6native12_GLOBAL__N_122max_pool_backward_nchwIN3c108BFloat16EfiEEvPKT_PKlT1_SA_SA_SA_SA_SA_iiiiiiiiPS5_.uses_vcc, 1
	.set _ZN2at6native12_GLOBAL__N_122max_pool_backward_nchwIN3c108BFloat16EfiEEvPKT_PKlT1_SA_SA_SA_SA_SA_iiiiiiiiPS5_.uses_flat_scratch, 0
	.set _ZN2at6native12_GLOBAL__N_122max_pool_backward_nchwIN3c108BFloat16EfiEEvPKT_PKlT1_SA_SA_SA_SA_SA_iiiiiiiiPS5_.has_dyn_sized_stack, 0
	.set _ZN2at6native12_GLOBAL__N_122max_pool_backward_nchwIN3c108BFloat16EfiEEvPKT_PKlT1_SA_SA_SA_SA_SA_iiiiiiiiPS5_.has_recursion, 0
	.set _ZN2at6native12_GLOBAL__N_122max_pool_backward_nchwIN3c108BFloat16EfiEEvPKT_PKlT1_SA_SA_SA_SA_SA_iiiiiiiiPS5_.has_indirect_call, 0
	.section	.AMDGPU.csdata,"",@progbits
; Kernel info:
; codeLenInByte = 1276
; TotalNumSgprs: 69
; NumVgprs: 20
; NumAgprs: 0
; TotalNumVgprs: 20
; ScratchSize: 0
; MemoryBound: 0
; FloatMode: 240
; IeeeMode: 1
; LDSByteSize: 0 bytes/workgroup (compile time only)
; SGPRBlocks: 8
; VGPRBlocks: 2
; NumSGPRsForWavesPerEU: 69
; NumVGPRsForWavesPerEU: 20
; AccumOffset: 20
; Occupancy: 8
; WaveLimiterHint : 0
; COMPUTE_PGM_RSRC2:SCRATCH_EN: 0
; COMPUTE_PGM_RSRC2:USER_SGPR: 2
; COMPUTE_PGM_RSRC2:TRAP_HANDLER: 0
; COMPUTE_PGM_RSRC2:TGID_X_EN: 1
; COMPUTE_PGM_RSRC2:TGID_Y_EN: 1
; COMPUTE_PGM_RSRC2:TGID_Z_EN: 1
; COMPUTE_PGM_RSRC2:TIDIG_COMP_CNT: 0
; COMPUTE_PGM_RSRC3_GFX90A:ACCUM_OFFSET: 4
; COMPUTE_PGM_RSRC3_GFX90A:TG_SPLIT: 0
	.section	.text._ZN2at6native12_GLOBAL__N_122max_pool_backward_nchwIN3c108BFloat16EflEEvPKT_PKlT1_SA_SA_SA_SA_SA_iiiiiiiiPS5_,"axG",@progbits,_ZN2at6native12_GLOBAL__N_122max_pool_backward_nchwIN3c108BFloat16EflEEvPKT_PKlT1_SA_SA_SA_SA_SA_iiiiiiiiPS5_,comdat
	.globl	_ZN2at6native12_GLOBAL__N_122max_pool_backward_nchwIN3c108BFloat16EflEEvPKT_PKlT1_SA_SA_SA_SA_SA_iiiiiiiiPS5_ ; -- Begin function _ZN2at6native12_GLOBAL__N_122max_pool_backward_nchwIN3c108BFloat16EflEEvPKT_PKlT1_SA_SA_SA_SA_SA_iiiiiiiiPS5_
	.p2align	8
	.type	_ZN2at6native12_GLOBAL__N_122max_pool_backward_nchwIN3c108BFloat16EflEEvPKT_PKlT1_SA_SA_SA_SA_SA_iiiiiiiiPS5_,@function
_ZN2at6native12_GLOBAL__N_122max_pool_backward_nchwIN3c108BFloat16EflEEvPKT_PKlT1_SA_SA_SA_SA_SA_iiiiiiiiPS5_: ; @_ZN2at6native12_GLOBAL__N_122max_pool_backward_nchwIN3c108BFloat16EflEEvPKT_PKlT1_SA_SA_SA_SA_SA_iiiiiiiiPS5_
; %bb.0:
	s_mov_b32 s10, s3
	s_load_dword s3, s[0:1], 0x74
	s_load_dwordx16 s[12:27], s[0:1], 0x0
	s_add_u32 s28, s0, 0x68
	v_mov_b32_e32 v2, 0
	s_addc_u32 s29, s1, 0
	s_waitcnt lgkmcnt(0)
	s_and_b32 s6, s3, 0xffff
	v_mov_b32_e32 v1, v2
	v_mov_b32_e32 v3, s2
	v_mad_u64_u32 v[0:1], s[2:3], s6, v3, v[0:1]
	s_mul_i32 s2, s22, s21
	s_mul_hi_u32 s3, s22, s20
	s_add_i32 s2, s3, s2
	s_mul_i32 s3, s23, s20
	s_add_i32 s21, s2, s3
	s_mul_i32 s20, s22, s20
	v_cmp_gt_i64_e32 vcc, s[20:21], v[0:1]
	s_and_saveexec_b64 s[2:3], vcc
	s_cbranch_execz .LBB27_43
; %bb.1:
	s_load_dwordx8 s[40:47], s[0:1], 0x40
	s_load_dwordx2 s[30:31], s[0:1], 0x60
	s_load_dword s7, s[28:29], 0x0
	v_cvt_f32_u32_e32 v3, s22
	s_mov_b32 s11, 0
	s_waitcnt lgkmcnt(0)
	s_add_i32 s0, s40, -1
	s_mul_i32 s0, s46, s0
	s_add_i32 s36, s0, 1
	s_add_i32 s0, s41, -1
	s_mul_i32 s0, s47, s0
	s_ashr_i32 s33, s42, 31
	s_mov_b32 s82, s42
	s_add_i32 s38, s0, 1
	s_mul_i32 s42, s7, s6
	s_mul_i32 s6, s19, s10
	s_mul_hi_u32 s7, s18, s10
	s_ashr_i32 s35, s44, 31
	s_ashr_i32 s37, s36, 31
	;; [unrolled: 1-line block ×5, first 2 shown]
	s_add_i32 s7, s7, s6
	s_mul_i32 s6, s18, s10
	s_add_u32 s6, s6, s4
	s_addc_u32 s7, s7, 0
	s_mul_i32 s7, s24, s7
	s_mul_hi_u32 s8, s24, s6
	v_rcp_iflag_f32_e32 v3, v3
	s_add_i32 s7, s8, s7
	s_mul_i32 s8, s25, s6
	s_mov_b32 s34, s44
	s_mov_b32 s40, s45
	s_add_i32 s45, s7, s8
	s_mul_i32 s44, s24, s6
	s_mul_i32 s6, s26, s25
	s_mul_hi_u32 s7, s26, s24
	s_add_i32 s6, s7, s6
	s_mul_i32 s7, s27, s24
	s_add_i32 s7, s6, s7
	s_mul_i32 s6, s26, s24
	v_mul_f32_e32 v3, 0x4f7ffffe, v3
	s_mul_i32 s8, s6, s19
	s_mul_hi_u32 s9, s6, s18
	v_cvt_u32_f32_e32 v34, v3
	v_mov_b64_e32 v[4:5], s[10:11]
	s_mov_b32 s5, s11
	s_add_i32 s8, s9, s8
	s_mul_i32 s9, s7, s18
	v_cmp_gt_i64_e64 s[0:1], s[16:17], v[4:5]
	v_mov_b64_e32 v[4:5], s[4:5]
	s_add_i32 s9, s8, s9
	s_mul_i32 s8, s6, s18
	s_mov_b32 s84, s43
	v_cmp_gt_i64_e64 s[2:3], s[18:19], v[4:5]
	s_mov_b32 s43, s11
	s_lshl_b64 s[46:47], s[8:9], 3
	s_lshl_b64 s[48:49], s[6:7], 3
	;; [unrolled: 1-line block ×6, first 2 shown]
	s_mov_b64 s[58:59], 0
	s_movk_i32 s85, 0x7fff
	v_mov_b32_e32 v35, 0x7fc0
	s_branch .LBB27_3
.LBB27_2:                               ;   in Loop: Header=BB27_3 Depth=1
	v_lshl_add_u64 v[0:1], v[0:1], 0, s[42:43]
	v_cmp_le_i64_e32 vcc, s[20:21], v[0:1]
	s_or_b64 s[58:59], vcc, s[58:59]
	s_andn2_b64 exec, exec, s[58:59]
	s_cbranch_execz .LBB27_43
.LBB27_3:                               ; =>This Loop Header: Depth=1
                                        ;     Child Loop BB27_30 Depth 2
                                        ;       Child Loop BB27_34 Depth 3
                                        ;         Child Loop BB27_38 Depth 4
                                        ;           Child Loop BB27_41 Depth 5
	v_or_b32_e32 v3, s23, v1
	v_cmp_ne_u64_e32 vcc, 0, v[2:3]
                                        ; implicit-def: $vgpr8_vgpr9
	s_and_saveexec_b64 s[6:7], vcc
	s_xor_b64 s[8:9], exec, s[6:7]
	s_cbranch_execz .LBB27_5
; %bb.4:                                ;   in Loop: Header=BB27_3 Depth=1
	s_ashr_i32 s60, s23, 31
	s_add_u32 s6, s22, s60
	s_mov_b32 s61, s60
	s_addc_u32 s7, s23, s60
	s_xor_b64 s[62:63], s[6:7], s[60:61]
	v_cvt_f32_u32_e32 v3, s62
	v_cvt_f32_u32_e32 v4, s63
	s_sub_u32 s61, 0, s62
	s_subb_u32 s64, 0, s63
	v_mov_b32_e32 v9, v2
	v_fmac_f32_e32 v3, 0x4f800000, v4
	v_rcp_f32_e32 v3, v3
	s_nop 0
	v_mul_f32_e32 v3, 0x5f7ffffc, v3
	v_mul_f32_e32 v4, 0x2f800000, v3
	v_trunc_f32_e32 v4, v4
	v_fmac_f32_e32 v3, 0xcf800000, v4
	v_cvt_u32_f32_e32 v4, v4
	v_cvt_u32_f32_e32 v3, v3
	v_readfirstlane_b32 s65, v4
	v_readfirstlane_b32 s6, v3
	s_mul_i32 s7, s61, s65
	s_mul_hi_u32 s67, s61, s6
	s_mul_i32 s66, s64, s6
	s_add_i32 s7, s67, s7
	s_add_i32 s7, s7, s66
	s_mul_i32 s68, s61, s6
	s_mul_i32 s67, s6, s7
	s_mul_hi_u32 s69, s6, s68
	s_mul_hi_u32 s66, s6, s7
	s_add_u32 s67, s69, s67
	s_addc_u32 s66, 0, s66
	s_mul_hi_u32 s70, s65, s68
	s_mul_i32 s68, s65, s68
	s_add_u32 s67, s67, s68
	s_mul_hi_u32 s69, s65, s7
	s_addc_u32 s66, s66, s70
	s_addc_u32 s67, s69, 0
	s_mul_i32 s7, s65, s7
	s_add_u32 s7, s66, s7
	s_addc_u32 s66, 0, s67
	s_add_u32 s67, s6, s7
	s_cselect_b64 s[6:7], -1, 0
	s_cmp_lg_u64 s[6:7], 0
	s_addc_u32 s65, s65, s66
	s_mul_i32 s6, s61, s65
	s_mul_hi_u32 s7, s61, s67
	s_add_i32 s6, s7, s6
	s_mul_i32 s64, s64, s67
	s_add_i32 s6, s6, s64
	s_mul_i32 s61, s61, s67
	s_mul_hi_u32 s64, s65, s61
	s_mul_i32 s66, s65, s61
	s_mul_i32 s69, s67, s6
	s_mul_hi_u32 s61, s67, s61
	s_mul_hi_u32 s68, s67, s6
	s_add_u32 s61, s61, s69
	s_addc_u32 s68, 0, s68
	s_add_u32 s61, s61, s66
	s_mul_hi_u32 s7, s65, s6
	s_addc_u32 s61, s68, s64
	s_addc_u32 s7, s7, 0
	s_mul_i32 s6, s65, s6
	s_add_u32 s6, s61, s6
	s_addc_u32 s61, 0, s7
	s_add_u32 s64, s67, s6
	v_ashrrev_i32_e32 v4, 31, v1
	s_cselect_b64 s[6:7], -1, 0
	v_mov_b32_e32 v5, v4
	s_cmp_lg_u64 s[6:7], 0
	v_lshl_add_u64 v[6:7], v[0:1], 0, v[4:5]
	s_addc_u32 s61, s65, s61
	v_xor_b32_e32 v5, v6, v4
	v_xor_b32_e32 v3, v7, v4
	v_mad_u64_u32 v[6:7], s[6:7], v5, s61, 0
	v_mul_hi_u32 v8, v5, s64
	v_lshl_add_u64 v[6:7], v[8:9], 0, v[6:7]
	v_mad_u64_u32 v[10:11], s[6:7], v3, s64, 0
	v_add_co_u32_e32 v6, vcc, v6, v10
	v_mad_u64_u32 v[8:9], s[6:7], v3, s61, 0
	s_nop 0
	v_addc_co_u32_e32 v6, vcc, v7, v11, vcc
	v_mov_b32_e32 v7, v2
	s_nop 0
	v_addc_co_u32_e32 v9, vcc, 0, v9, vcc
	v_lshl_add_u64 v[6:7], v[6:7], 0, v[8:9]
	v_mul_lo_u32 v10, s63, v6
	v_mul_lo_u32 v11, s62, v7
	v_mad_u64_u32 v[8:9], s[6:7], s62, v6, 0
	v_add3_u32 v12, v9, v11, v10
	v_sub_u32_e32 v9, v3, v12
	v_mov_b32_e32 v10, s63
	v_sub_co_u32_e32 v5, vcc, v5, v8
	v_xor_b32_e32 v4, s60, v4
	s_nop 0
	v_subb_co_u32_e64 v8, s[6:7], v9, v10, vcc
	v_subrev_co_u32_e64 v9, s[6:7], s62, v5
	v_subb_co_u32_e32 v3, vcc, v3, v12, vcc
	s_nop 0
	v_subbrev_co_u32_e64 v8, s[6:7], 0, v8, s[6:7]
	v_cmp_le_u32_e64 s[6:7], s63, v8
	v_cmp_le_u32_e32 vcc, s63, v3
	s_nop 0
	v_cndmask_b32_e64 v10, 0, -1, s[6:7]
	v_cmp_le_u32_e64 s[6:7], s62, v9
	s_nop 1
	v_cndmask_b32_e64 v9, 0, -1, s[6:7]
	v_cmp_eq_u32_e64 s[6:7], s63, v8
	s_nop 1
	v_cndmask_b32_e64 v13, v10, v9, s[6:7]
	v_lshl_add_u64 v[8:9], v[6:7], 0, 2
	v_lshl_add_u64 v[10:11], v[6:7], 0, 1
	v_cmp_ne_u32_e64 s[6:7], 0, v13
	s_nop 1
	v_cndmask_b32_e64 v9, v11, v9, s[6:7]
	v_cndmask_b32_e64 v11, 0, -1, vcc
	v_cmp_le_u32_e32 vcc, s62, v5
	s_nop 1
	v_cndmask_b32_e64 v5, 0, -1, vcc
	v_cmp_eq_u32_e32 vcc, s63, v3
	s_nop 1
	v_cndmask_b32_e32 v3, v11, v5, vcc
	v_cmp_ne_u32_e32 vcc, 0, v3
	v_cndmask_b32_e64 v5, v10, v8, s[6:7]
	s_nop 0
	v_cndmask_b32_e32 v5, v6, v5, vcc
	v_cndmask_b32_e32 v3, v7, v9, vcc
	v_xor_b32_e32 v5, v5, v4
	v_xor_b32_e32 v3, v3, v4
	v_sub_co_u32_e32 v8, vcc, v5, v4
	s_nop 1
	v_subb_co_u32_e32 v9, vcc, v3, v4, vcc
.LBB27_5:                               ;   in Loop: Header=BB27_3 Depth=1
	s_andn2_saveexec_b64 s[6:7], s[8:9]
	s_cbranch_execz .LBB27_7
; %bb.6:                                ;   in Loop: Header=BB27_3 Depth=1
	s_sub_i32 s8, 0, s22
	v_mul_lo_u32 v3, s8, v34
	v_mul_hi_u32 v3, v34, v3
	v_add_u32_e32 v3, v34, v3
	v_mul_hi_u32 v3, v0, v3
	v_mul_lo_u32 v4, v3, s22
	v_sub_u32_e32 v4, v0, v4
	v_subrev_u32_e32 v5, s22, v4
	v_cmp_le_u32_e32 vcc, s22, v4
	v_mov_b32_e32 v9, v2
	s_nop 0
	v_cndmask_b32_e32 v4, v4, v5, vcc
	v_add_u32_e32 v5, 1, v3
	v_cndmask_b32_e32 v3, v3, v5, vcc
	v_add_u32_e32 v5, 1, v3
	v_cmp_le_u32_e32 vcc, s22, v4
	s_nop 1
	v_cndmask_b32_e32 v8, v3, v5, vcc
.LBB27_7:                               ;   in Loop: Header=BB27_3 Depth=1
	s_or_b64 exec, exec, s[6:7]
	v_lshl_add_u64 v[10:11], v[8:9], 0, s[34:35]
	v_cmp_le_i64_e32 vcc, s[36:37], v[10:11]
	v_mov_b64_e32 v[4:5], 0
	s_and_saveexec_b64 s[8:9], vcc
	s_cbranch_execz .LBB27_13
; %bb.8:                                ;   in Loop: Header=BB27_3 Depth=1
	v_mov_b32_e32 v3, s37
	v_subrev_co_u32_e32 v4, vcc, s36, v10
                                        ; implicit-def: $vgpr6_vgpr7
	s_nop 1
	v_subb_co_u32_e32 v5, vcc, v11, v3, vcc
	v_or_b32_e32 v3, s33, v5
	v_cmp_ne_u64_e32 vcc, 0, v[2:3]
	s_and_saveexec_b64 s[6:7], vcc
	s_xor_b64 s[60:61], exec, s[6:7]
	s_cbranch_execz .LBB27_10
; %bb.9:                                ;   in Loop: Header=BB27_3 Depth=1
	s_ashr_i32 s62, s33, 31
	s_add_u32 s6, s82, s62
	s_mov_b32 s63, s62
	s_addc_u32 s7, s33, s62
	s_xor_b64 s[64:65], s[6:7], s[62:63]
	v_cvt_f32_u32_e32 v3, s64
	v_cvt_f32_u32_e32 v6, s65
	s_sub_u32 s63, 0, s64
	s_subb_u32 s66, 0, s65
	v_mov_b32_e32 v13, v2
	v_fmac_f32_e32 v3, 0x4f800000, v6
	v_rcp_f32_e32 v3, v3
	s_nop 0
	v_mul_f32_e32 v3, 0x5f7ffffc, v3
	v_mul_f32_e32 v6, 0x2f800000, v3
	v_trunc_f32_e32 v6, v6
	v_fmac_f32_e32 v3, 0xcf800000, v6
	v_cvt_u32_f32_e32 v6, v6
	v_cvt_u32_f32_e32 v3, v3
	v_readfirstlane_b32 s67, v6
	v_readfirstlane_b32 s6, v3
	s_mul_i32 s7, s63, s67
	s_mul_hi_u32 s69, s63, s6
	s_mul_i32 s68, s66, s6
	s_add_i32 s7, s69, s7
	s_add_i32 s7, s7, s68
	s_mul_i32 s70, s63, s6
	s_mul_i32 s69, s6, s7
	s_mul_hi_u32 s71, s6, s70
	s_mul_hi_u32 s68, s6, s7
	s_add_u32 s69, s71, s69
	s_addc_u32 s68, 0, s68
	s_mul_hi_u32 s72, s67, s70
	s_mul_i32 s70, s67, s70
	s_add_u32 s69, s69, s70
	s_mul_hi_u32 s71, s67, s7
	s_addc_u32 s68, s68, s72
	s_addc_u32 s69, s71, 0
	s_mul_i32 s7, s67, s7
	s_add_u32 s7, s68, s7
	s_addc_u32 s68, 0, s69
	s_add_u32 s69, s6, s7
	s_cselect_b64 s[6:7], -1, 0
	s_cmp_lg_u64 s[6:7], 0
	s_addc_u32 s67, s67, s68
	s_mul_i32 s6, s63, s67
	s_mul_hi_u32 s7, s63, s69
	s_add_i32 s6, s7, s6
	s_mul_i32 s66, s66, s69
	s_add_i32 s6, s6, s66
	s_mul_i32 s63, s63, s69
	s_mul_hi_u32 s66, s67, s63
	s_mul_i32 s68, s67, s63
	s_mul_i32 s71, s69, s6
	s_mul_hi_u32 s63, s69, s63
	s_mul_hi_u32 s70, s69, s6
	s_add_u32 s63, s63, s71
	s_addc_u32 s70, 0, s70
	s_add_u32 s63, s63, s68
	s_mul_hi_u32 s7, s67, s6
	s_addc_u32 s63, s70, s66
	s_addc_u32 s7, s7, 0
	s_mul_i32 s6, s67, s6
	s_add_u32 s6, s63, s6
	s_addc_u32 s63, 0, s7
	s_add_u32 s66, s69, s6
	v_ashrrev_i32_e32 v6, 31, v5
	s_cselect_b64 s[6:7], -1, 0
	v_mov_b32_e32 v7, v6
	s_cmp_lg_u64 s[6:7], 0
	v_lshl_add_u64 v[4:5], v[4:5], 0, v[6:7]
	s_addc_u32 s63, s67, s63
	v_xor_b32_e32 v7, v4, v6
	v_xor_b32_e32 v3, v5, v6
	v_mad_u64_u32 v[4:5], s[6:7], v7, s63, 0
	v_mul_hi_u32 v12, v7, s66
	v_lshl_add_u64 v[4:5], v[12:13], 0, v[4:5]
	v_mad_u64_u32 v[14:15], s[6:7], v3, s66, 0
	v_add_co_u32_e32 v4, vcc, v4, v14
	v_mad_u64_u32 v[12:13], s[6:7], v3, s63, 0
	s_nop 0
	v_addc_co_u32_e32 v4, vcc, v5, v15, vcc
	v_mov_b32_e32 v5, v2
	s_nop 0
	v_addc_co_u32_e32 v13, vcc, 0, v13, vcc
	v_lshl_add_u64 v[4:5], v[4:5], 0, v[12:13]
	v_mul_lo_u32 v14, s65, v4
	v_mul_lo_u32 v15, s64, v5
	v_mad_u64_u32 v[12:13], s[6:7], s64, v4, 0
	v_add3_u32 v16, v13, v15, v14
	v_sub_u32_e32 v13, v3, v16
	v_mov_b32_e32 v14, s65
	v_sub_co_u32_e32 v7, vcc, v7, v12
	s_nop 1
	v_subb_co_u32_e64 v12, s[6:7], v13, v14, vcc
	v_subrev_co_u32_e64 v13, s[6:7], s64, v7
	v_subb_co_u32_e32 v3, vcc, v3, v16, vcc
	s_nop 0
	v_subbrev_co_u32_e64 v12, s[6:7], 0, v12, s[6:7]
	v_cmp_le_u32_e64 s[6:7], s65, v12
	v_cmp_le_u32_e32 vcc, s65, v3
	s_nop 0
	v_cndmask_b32_e64 v14, 0, -1, s[6:7]
	v_cmp_le_u32_e64 s[6:7], s64, v13
	s_nop 1
	v_cndmask_b32_e64 v13, 0, -1, s[6:7]
	v_cmp_eq_u32_e64 s[6:7], s65, v12
	s_nop 1
	v_cndmask_b32_e64 v17, v14, v13, s[6:7]
	v_lshl_add_u64 v[12:13], v[4:5], 0, 2
	v_lshl_add_u64 v[14:15], v[4:5], 0, 1
	v_cmp_ne_u32_e64 s[6:7], 0, v17
	s_nop 1
	v_cndmask_b32_e64 v13, v15, v13, s[6:7]
	v_cndmask_b32_e64 v15, 0, -1, vcc
	v_cmp_le_u32_e32 vcc, s64, v7
	s_nop 1
	v_cndmask_b32_e64 v7, 0, -1, vcc
	v_cmp_eq_u32_e32 vcc, s65, v3
	s_nop 1
	v_cndmask_b32_e32 v3, v15, v7, vcc
	v_cmp_ne_u32_e32 vcc, 0, v3
	s_nop 1
	v_cndmask_b32_e32 v3, v5, v13, vcc
	v_cndmask_b32_e64 v5, v14, v12, s[6:7]
	v_cndmask_b32_e32 v4, v4, v5, vcc
	v_xor_b32_e32 v5, s62, v6
	v_xor_b32_e32 v4, v4, v5
	;; [unrolled: 1-line block ×3, first 2 shown]
	v_sub_co_u32_e32 v6, vcc, v4, v5
                                        ; implicit-def: $vgpr4
	s_nop 1
	v_subb_co_u32_e32 v7, vcc, v3, v5, vcc
.LBB27_10:                              ;   in Loop: Header=BB27_3 Depth=1
	s_andn2_saveexec_b64 s[6:7], s[60:61]
	s_cbranch_execz .LBB27_12
; %bb.11:                               ;   in Loop: Header=BB27_3 Depth=1
	v_cvt_f32_u32_e32 v3, s82
	s_sub_i32 s60, 0, s82
	v_mov_b32_e32 v7, v2
	v_rcp_iflag_f32_e32 v3, v3
	s_nop 0
	v_mul_f32_e32 v3, 0x4f7ffffe, v3
	v_cvt_u32_f32_e32 v3, v3
	v_mul_lo_u32 v5, s60, v3
	v_mul_hi_u32 v5, v3, v5
	v_add_u32_e32 v3, v3, v5
	v_mul_hi_u32 v3, v4, v3
	v_mul_lo_u32 v5, v3, s82
	v_sub_u32_e32 v4, v4, v5
	v_add_u32_e32 v6, 1, v3
	v_subrev_u32_e32 v5, s82, v4
	v_cmp_le_u32_e32 vcc, s82, v4
	s_nop 1
	v_cndmask_b32_e32 v4, v4, v5, vcc
	v_cndmask_b32_e32 v3, v3, v6, vcc
	v_add_u32_e32 v5, 1, v3
	v_cmp_le_u32_e32 vcc, s82, v4
	s_nop 1
	v_cndmask_b32_e32 v6, v3, v5, vcc
.LBB27_12:                              ;   in Loop: Header=BB27_3 Depth=1
	s_or_b64 exec, exec, s[6:7]
	v_lshl_add_u64 v[4:5], v[6:7], 0, 1
.LBB27_13:                              ;   in Loop: Header=BB27_3 Depth=1
	s_or_b64 exec, exec, s[8:9]
	v_or_b32_e32 v3, s33, v11
	v_cmp_ne_u64_e32 vcc, 0, v[2:3]
                                        ; implicit-def: $vgpr6_vgpr7
	s_and_saveexec_b64 s[6:7], vcc
	s_xor_b64 s[8:9], exec, s[6:7]
	s_cbranch_execz .LBB27_15
; %bb.14:                               ;   in Loop: Header=BB27_3 Depth=1
	s_ashr_i32 s60, s33, 31
	s_add_u32 s6, s82, s60
	s_mov_b32 s61, s60
	s_addc_u32 s7, s33, s60
	s_xor_b64 s[62:63], s[6:7], s[60:61]
	v_cvt_f32_u32_e32 v3, s62
	v_cvt_f32_u32_e32 v6, s63
	s_sub_u32 s61, 0, s62
	s_subb_u32 s64, 0, s63
	v_mov_b32_e32 v13, v2
	v_fmac_f32_e32 v3, 0x4f800000, v6
	v_rcp_f32_e32 v3, v3
	s_nop 0
	v_mul_f32_e32 v3, 0x5f7ffffc, v3
	v_mul_f32_e32 v6, 0x2f800000, v3
	v_trunc_f32_e32 v6, v6
	v_fmac_f32_e32 v3, 0xcf800000, v6
	v_cvt_u32_f32_e32 v6, v6
	v_cvt_u32_f32_e32 v3, v3
	v_readfirstlane_b32 s65, v6
	v_readfirstlane_b32 s6, v3
	s_mul_i32 s7, s61, s65
	s_mul_hi_u32 s67, s61, s6
	s_mul_i32 s66, s64, s6
	s_add_i32 s7, s67, s7
	s_add_i32 s7, s7, s66
	s_mul_i32 s68, s61, s6
	s_mul_i32 s67, s6, s7
	s_mul_hi_u32 s69, s6, s68
	s_mul_hi_u32 s66, s6, s7
	s_add_u32 s67, s69, s67
	s_addc_u32 s66, 0, s66
	s_mul_hi_u32 s70, s65, s68
	s_mul_i32 s68, s65, s68
	s_add_u32 s67, s67, s68
	s_mul_hi_u32 s69, s65, s7
	s_addc_u32 s66, s66, s70
	s_addc_u32 s67, s69, 0
	s_mul_i32 s7, s65, s7
	s_add_u32 s7, s66, s7
	s_addc_u32 s66, 0, s67
	s_add_u32 s67, s6, s7
	s_cselect_b64 s[6:7], -1, 0
	s_cmp_lg_u64 s[6:7], 0
	s_addc_u32 s65, s65, s66
	s_mul_i32 s6, s61, s65
	s_mul_hi_u32 s7, s61, s67
	s_add_i32 s6, s7, s6
	s_mul_i32 s64, s64, s67
	s_add_i32 s6, s6, s64
	s_mul_i32 s61, s61, s67
	s_mul_hi_u32 s64, s65, s61
	s_mul_i32 s66, s65, s61
	s_mul_i32 s69, s67, s6
	s_mul_hi_u32 s61, s67, s61
	s_mul_hi_u32 s68, s67, s6
	s_add_u32 s61, s61, s69
	s_addc_u32 s68, 0, s68
	s_add_u32 s61, s61, s66
	s_mul_hi_u32 s7, s65, s6
	s_addc_u32 s61, s68, s64
	s_addc_u32 s7, s7, 0
	s_mul_i32 s6, s65, s6
	s_add_u32 s6, s61, s6
	s_addc_u32 s61, 0, s7
	s_add_u32 s64, s67, s6
	v_ashrrev_i32_e32 v6, 31, v11
	s_cselect_b64 s[6:7], -1, 0
	v_mov_b32_e32 v7, v6
	s_cmp_lg_u64 s[6:7], 0
	v_lshl_add_u64 v[10:11], v[10:11], 0, v[6:7]
	s_addc_u32 s61, s65, s61
	v_xor_b32_e32 v7, v10, v6
	v_xor_b32_e32 v3, v11, v6
	v_mad_u64_u32 v[10:11], s[6:7], v7, s61, 0
	v_mul_hi_u32 v12, v7, s64
	v_lshl_add_u64 v[10:11], v[12:13], 0, v[10:11]
	v_mad_u64_u32 v[14:15], s[6:7], v3, s64, 0
	v_add_co_u32_e32 v10, vcc, v10, v14
	v_mad_u64_u32 v[12:13], s[6:7], v3, s61, 0
	s_nop 0
	v_addc_co_u32_e32 v10, vcc, v11, v15, vcc
	v_mov_b32_e32 v11, v2
	s_nop 0
	v_addc_co_u32_e32 v13, vcc, 0, v13, vcc
	v_lshl_add_u64 v[10:11], v[10:11], 0, v[12:13]
	v_mul_lo_u32 v14, s63, v10
	v_mul_lo_u32 v15, s62, v11
	v_mad_u64_u32 v[12:13], s[6:7], s62, v10, 0
	v_add3_u32 v16, v13, v15, v14
	v_sub_u32_e32 v13, v3, v16
	v_mov_b32_e32 v14, s63
	v_sub_co_u32_e32 v7, vcc, v7, v12
	s_nop 1
	v_subb_co_u32_e64 v12, s[6:7], v13, v14, vcc
	v_subrev_co_u32_e64 v13, s[6:7], s62, v7
	v_subb_co_u32_e32 v3, vcc, v3, v16, vcc
	s_nop 0
	v_subbrev_co_u32_e64 v12, s[6:7], 0, v12, s[6:7]
	v_cmp_le_u32_e64 s[6:7], s63, v12
	v_cmp_le_u32_e32 vcc, s63, v3
	s_nop 0
	v_cndmask_b32_e64 v14, 0, -1, s[6:7]
	v_cmp_le_u32_e64 s[6:7], s62, v13
	s_nop 1
	v_cndmask_b32_e64 v13, 0, -1, s[6:7]
	v_cmp_eq_u32_e64 s[6:7], s63, v12
	s_nop 1
	v_cndmask_b32_e64 v17, v14, v13, s[6:7]
	v_lshl_add_u64 v[12:13], v[10:11], 0, 2
	v_lshl_add_u64 v[14:15], v[10:11], 0, 1
	v_cmp_ne_u32_e64 s[6:7], 0, v17
	s_nop 1
	v_cndmask_b32_e64 v13, v15, v13, s[6:7]
	v_cndmask_b32_e64 v15, 0, -1, vcc
	v_cmp_le_u32_e32 vcc, s62, v7
	s_nop 1
	v_cndmask_b32_e64 v7, 0, -1, vcc
	v_cmp_eq_u32_e32 vcc, s63, v3
	s_nop 1
	v_cndmask_b32_e32 v3, v15, v7, vcc
	v_cmp_ne_u32_e32 vcc, 0, v3
	v_cndmask_b32_e64 v7, v14, v12, s[6:7]
	s_nop 0
	v_cndmask_b32_e32 v7, v10, v7, vcc
	v_xor_b32_e32 v10, s60, v6
	v_cndmask_b32_e32 v3, v11, v13, vcc
	v_xor_b32_e32 v6, v7, v10
	v_xor_b32_e32 v3, v3, v10
	v_sub_co_u32_e32 v6, vcc, v6, v10
	s_nop 1
	v_subb_co_u32_e32 v7, vcc, v3, v10, vcc
                                        ; implicit-def: $vgpr10_vgpr11
.LBB27_15:                              ;   in Loop: Header=BB27_3 Depth=1
	s_andn2_saveexec_b64 s[6:7], s[8:9]
	s_cbranch_execz .LBB27_17
; %bb.16:                               ;   in Loop: Header=BB27_3 Depth=1
	v_cvt_f32_u32_e32 v3, s82
	s_sub_i32 s8, 0, s82
	v_rcp_iflag_f32_e32 v3, v3
	s_nop 0
	v_mul_f32_e32 v3, 0x4f7ffffe, v3
	v_cvt_u32_f32_e32 v3, v3
	v_mul_lo_u32 v6, s8, v3
	v_mul_hi_u32 v6, v3, v6
	v_add_u32_e32 v3, v3, v6
	v_mul_hi_u32 v3, v10, v3
	v_mul_lo_u32 v6, v3, s82
	v_sub_u32_e32 v6, v10, v6
	v_add_u32_e32 v7, 1, v3
	v_subrev_u32_e32 v10, s82, v6
	v_cmp_le_u32_e32 vcc, s82, v6
	s_nop 1
	v_cndmask_b32_e32 v6, v6, v10, vcc
	v_cndmask_b32_e32 v3, v3, v7, vcc
	v_add_u32_e32 v7, 1, v3
	v_cmp_le_u32_e32 vcc, s82, v6
	s_nop 1
	v_cndmask_b32_e32 v6, v3, v7, vcc
	v_mov_b32_e32 v7, v2
.LBB27_17:                              ;   in Loop: Header=BB27_3 Depth=1
	s_or_b64 exec, exec, s[6:7]
	v_mul_lo_u32 v3, v9, s22
	v_mul_lo_u32 v10, v8, s23
	v_mad_u64_u32 v[8:9], s[6:7], v8, s22, 0
	v_add3_u32 v3, v9, v10, v3
	v_sub_co_u32_e32 v8, vcc, v0, v8
	s_nop 1
	v_subb_co_u32_e32 v9, vcc, v1, v3, vcc
	v_lshl_add_u64 v[10:11], v[8:9], 0, s[40:41]
	v_cmp_le_i64_e32 vcc, s[38:39], v[10:11]
	v_mov_b64_e32 v[8:9], 0
	s_and_saveexec_b64 s[8:9], vcc
	s_cbranch_execz .LBB27_23
; %bb.18:                               ;   in Loop: Header=BB27_3 Depth=1
	v_mov_b32_e32 v3, s39
	v_subrev_co_u32_e32 v8, vcc, s38, v10
                                        ; implicit-def: $vgpr12_vgpr13
	s_nop 1
	v_subb_co_u32_e32 v9, vcc, v11, v3, vcc
	v_or_b32_e32 v3, s83, v9
	v_cmp_ne_u64_e32 vcc, 0, v[2:3]
	s_and_saveexec_b64 s[6:7], vcc
	s_xor_b64 s[60:61], exec, s[6:7]
	s_cbranch_execz .LBB27_20
; %bb.19:                               ;   in Loop: Header=BB27_3 Depth=1
	s_ashr_i32 s62, s83, 31
	s_add_u32 s6, s84, s62
	s_mov_b32 s63, s62
	s_addc_u32 s7, s83, s62
	s_xor_b64 s[64:65], s[6:7], s[62:63]
	v_cvt_f32_u32_e32 v3, s64
	v_cvt_f32_u32_e32 v12, s65
	s_sub_u32 s63, 0, s64
	s_subb_u32 s66, 0, s65
	v_mov_b32_e32 v15, v2
	v_fmac_f32_e32 v3, 0x4f800000, v12
	v_rcp_f32_e32 v3, v3
	s_nop 0
	v_mul_f32_e32 v3, 0x5f7ffffc, v3
	v_mul_f32_e32 v12, 0x2f800000, v3
	v_trunc_f32_e32 v12, v12
	v_fmac_f32_e32 v3, 0xcf800000, v12
	v_cvt_u32_f32_e32 v12, v12
	v_cvt_u32_f32_e32 v3, v3
	v_readfirstlane_b32 s67, v12
	v_readfirstlane_b32 s6, v3
	s_mul_i32 s7, s63, s67
	s_mul_hi_u32 s69, s63, s6
	s_mul_i32 s68, s66, s6
	s_add_i32 s7, s69, s7
	s_add_i32 s7, s7, s68
	s_mul_i32 s70, s63, s6
	s_mul_i32 s69, s6, s7
	s_mul_hi_u32 s71, s6, s70
	s_mul_hi_u32 s68, s6, s7
	s_add_u32 s69, s71, s69
	s_addc_u32 s68, 0, s68
	s_mul_hi_u32 s72, s67, s70
	s_mul_i32 s70, s67, s70
	s_add_u32 s69, s69, s70
	s_mul_hi_u32 s71, s67, s7
	s_addc_u32 s68, s68, s72
	s_addc_u32 s69, s71, 0
	s_mul_i32 s7, s67, s7
	s_add_u32 s7, s68, s7
	s_addc_u32 s68, 0, s69
	s_add_u32 s69, s6, s7
	s_cselect_b64 s[6:7], -1, 0
	s_cmp_lg_u64 s[6:7], 0
	s_addc_u32 s67, s67, s68
	s_mul_i32 s6, s63, s67
	s_mul_hi_u32 s7, s63, s69
	s_add_i32 s6, s7, s6
	s_mul_i32 s66, s66, s69
	s_add_i32 s6, s6, s66
	s_mul_i32 s63, s63, s69
	s_mul_hi_u32 s66, s67, s63
	s_mul_i32 s68, s67, s63
	s_mul_i32 s71, s69, s6
	s_mul_hi_u32 s63, s69, s63
	s_mul_hi_u32 s70, s69, s6
	s_add_u32 s63, s63, s71
	s_addc_u32 s70, 0, s70
	s_add_u32 s63, s63, s68
	s_mul_hi_u32 s7, s67, s6
	s_addc_u32 s63, s70, s66
	s_addc_u32 s7, s7, 0
	s_mul_i32 s6, s67, s6
	s_add_u32 s6, s63, s6
	s_addc_u32 s63, 0, s7
	s_add_u32 s66, s69, s6
	v_ashrrev_i32_e32 v12, 31, v9
	s_cselect_b64 s[6:7], -1, 0
	v_mov_b32_e32 v13, v12
	s_cmp_lg_u64 s[6:7], 0
	v_lshl_add_u64 v[8:9], v[8:9], 0, v[12:13]
	s_addc_u32 s63, s67, s63
	v_xor_b32_e32 v13, v8, v12
	v_xor_b32_e32 v3, v9, v12
	v_mad_u64_u32 v[8:9], s[6:7], v13, s63, 0
	v_mul_hi_u32 v14, v13, s66
	v_lshl_add_u64 v[8:9], v[14:15], 0, v[8:9]
	v_mad_u64_u32 v[16:17], s[6:7], v3, s66, 0
	v_add_co_u32_e32 v8, vcc, v8, v16
	v_mad_u64_u32 v[14:15], s[6:7], v3, s63, 0
	s_nop 0
	v_addc_co_u32_e32 v8, vcc, v9, v17, vcc
	v_mov_b32_e32 v9, v2
	s_nop 0
	v_addc_co_u32_e32 v15, vcc, 0, v15, vcc
	v_lshl_add_u64 v[8:9], v[8:9], 0, v[14:15]
	v_mul_lo_u32 v16, s65, v8
	v_mul_lo_u32 v17, s64, v9
	v_mad_u64_u32 v[14:15], s[6:7], s64, v8, 0
	v_add3_u32 v18, v15, v17, v16
	v_sub_u32_e32 v15, v3, v18
	v_mov_b32_e32 v16, s65
	v_sub_co_u32_e32 v13, vcc, v13, v14
	s_nop 1
	v_subb_co_u32_e64 v14, s[6:7], v15, v16, vcc
	v_subrev_co_u32_e64 v15, s[6:7], s64, v13
	v_subb_co_u32_e32 v3, vcc, v3, v18, vcc
	s_nop 0
	v_subbrev_co_u32_e64 v14, s[6:7], 0, v14, s[6:7]
	v_cmp_le_u32_e64 s[6:7], s65, v14
	v_cmp_le_u32_e32 vcc, s65, v3
	s_nop 0
	v_cndmask_b32_e64 v16, 0, -1, s[6:7]
	v_cmp_le_u32_e64 s[6:7], s64, v15
	s_nop 1
	v_cndmask_b32_e64 v15, 0, -1, s[6:7]
	v_cmp_eq_u32_e64 s[6:7], s65, v14
	s_nop 1
	v_cndmask_b32_e64 v19, v16, v15, s[6:7]
	v_lshl_add_u64 v[14:15], v[8:9], 0, 2
	v_lshl_add_u64 v[16:17], v[8:9], 0, 1
	v_cmp_ne_u32_e64 s[6:7], 0, v19
	s_nop 1
	v_cndmask_b32_e64 v15, v17, v15, s[6:7]
	v_cndmask_b32_e64 v17, 0, -1, vcc
	v_cmp_le_u32_e32 vcc, s64, v13
	s_nop 1
	v_cndmask_b32_e64 v13, 0, -1, vcc
	v_cmp_eq_u32_e32 vcc, s65, v3
	s_nop 1
	v_cndmask_b32_e32 v3, v17, v13, vcc
	v_cmp_ne_u32_e32 vcc, 0, v3
	s_nop 1
	v_cndmask_b32_e32 v3, v9, v15, vcc
	v_cndmask_b32_e64 v9, v16, v14, s[6:7]
	v_cndmask_b32_e32 v8, v8, v9, vcc
	v_xor_b32_e32 v9, s62, v12
	v_xor_b32_e32 v8, v8, v9
	v_xor_b32_e32 v3, v3, v9
	v_sub_co_u32_e32 v12, vcc, v8, v9
                                        ; implicit-def: $vgpr8
	s_nop 1
	v_subb_co_u32_e32 v13, vcc, v3, v9, vcc
.LBB27_20:                              ;   in Loop: Header=BB27_3 Depth=1
	s_andn2_saveexec_b64 s[6:7], s[60:61]
	s_cbranch_execz .LBB27_22
; %bb.21:                               ;   in Loop: Header=BB27_3 Depth=1
	v_cvt_f32_u32_e32 v3, s84
	s_sub_i32 s60, 0, s84
	v_mov_b32_e32 v13, v2
	v_rcp_iflag_f32_e32 v3, v3
	s_nop 0
	v_mul_f32_e32 v3, 0x4f7ffffe, v3
	v_cvt_u32_f32_e32 v3, v3
	v_mul_lo_u32 v9, s60, v3
	v_mul_hi_u32 v9, v3, v9
	v_add_u32_e32 v3, v3, v9
	v_mul_hi_u32 v3, v8, v3
	v_mul_lo_u32 v9, v3, s84
	v_sub_u32_e32 v8, v8, v9
	v_add_u32_e32 v12, 1, v3
	v_subrev_u32_e32 v9, s84, v8
	v_cmp_le_u32_e32 vcc, s84, v8
	s_nop 1
	v_cndmask_b32_e32 v8, v8, v9, vcc
	v_cndmask_b32_e32 v3, v3, v12, vcc
	v_add_u32_e32 v9, 1, v3
	v_cmp_le_u32_e32 vcc, s84, v8
	s_nop 1
	v_cndmask_b32_e32 v12, v3, v9, vcc
.LBB27_22:                              ;   in Loop: Header=BB27_3 Depth=1
	s_or_b64 exec, exec, s[6:7]
	v_lshl_add_u64 v[8:9], v[12:13], 0, 1
.LBB27_23:                              ;   in Loop: Header=BB27_3 Depth=1
	s_or_b64 exec, exec, s[8:9]
	v_or_b32_e32 v3, s83, v11
	v_cmp_ne_u64_e32 vcc, 0, v[2:3]
                                        ; implicit-def: $vgpr12_vgpr13
	s_and_saveexec_b64 s[6:7], vcc
	s_xor_b64 s[8:9], exec, s[6:7]
	s_cbranch_execnz .LBB27_26
; %bb.24:                               ;   in Loop: Header=BB27_3 Depth=1
	s_andn2_saveexec_b64 s[6:7], s[8:9]
	s_cbranch_execnz .LBB27_27
.LBB27_25:                              ;   in Loop: Header=BB27_3 Depth=1
	s_or_b64 exec, exec, s[6:7]
	s_andn2_b64 vcc, exec, s[0:1]
	s_cbranch_vccnz .LBB27_2
	s_branch .LBB27_28
.LBB27_26:                              ;   in Loop: Header=BB27_3 Depth=1
	s_ashr_i32 s60, s83, 31
	s_add_u32 s6, s84, s60
	s_mov_b32 s61, s60
	s_addc_u32 s7, s83, s60
	s_xor_b64 s[62:63], s[6:7], s[60:61]
	v_cvt_f32_u32_e32 v3, s62
	v_cvt_f32_u32_e32 v12, s63
	s_sub_u32 s61, 0, s62
	s_subb_u32 s64, 0, s63
	v_mov_b32_e32 v15, v2
	v_fmac_f32_e32 v3, 0x4f800000, v12
	v_rcp_f32_e32 v3, v3
	s_nop 0
	v_mul_f32_e32 v3, 0x5f7ffffc, v3
	v_mul_f32_e32 v12, 0x2f800000, v3
	v_trunc_f32_e32 v12, v12
	v_fmac_f32_e32 v3, 0xcf800000, v12
	v_cvt_u32_f32_e32 v12, v12
	v_cvt_u32_f32_e32 v3, v3
	v_readfirstlane_b32 s65, v12
	v_readfirstlane_b32 s6, v3
	s_mul_i32 s7, s61, s65
	s_mul_hi_u32 s67, s61, s6
	s_mul_i32 s66, s64, s6
	s_add_i32 s7, s67, s7
	s_add_i32 s7, s7, s66
	s_mul_i32 s68, s61, s6
	s_mul_i32 s67, s6, s7
	s_mul_hi_u32 s69, s6, s68
	s_mul_hi_u32 s66, s6, s7
	s_add_u32 s67, s69, s67
	s_addc_u32 s66, 0, s66
	s_mul_hi_u32 s70, s65, s68
	s_mul_i32 s68, s65, s68
	s_add_u32 s67, s67, s68
	s_mul_hi_u32 s69, s65, s7
	s_addc_u32 s66, s66, s70
	s_addc_u32 s67, s69, 0
	s_mul_i32 s7, s65, s7
	s_add_u32 s7, s66, s7
	s_addc_u32 s66, 0, s67
	s_add_u32 s67, s6, s7
	s_cselect_b64 s[6:7], -1, 0
	s_cmp_lg_u64 s[6:7], 0
	s_addc_u32 s65, s65, s66
	s_mul_i32 s6, s61, s65
	s_mul_hi_u32 s7, s61, s67
	s_add_i32 s6, s7, s6
	s_mul_i32 s64, s64, s67
	s_add_i32 s6, s6, s64
	s_mul_i32 s61, s61, s67
	s_mul_hi_u32 s64, s65, s61
	s_mul_i32 s66, s65, s61
	s_mul_i32 s69, s67, s6
	s_mul_hi_u32 s61, s67, s61
	s_mul_hi_u32 s68, s67, s6
	s_add_u32 s61, s61, s69
	s_addc_u32 s68, 0, s68
	s_add_u32 s61, s61, s66
	s_mul_hi_u32 s7, s65, s6
	s_addc_u32 s61, s68, s64
	s_addc_u32 s7, s7, 0
	s_mul_i32 s6, s65, s6
	s_add_u32 s6, s61, s6
	s_addc_u32 s61, 0, s7
	s_add_u32 s64, s67, s6
	v_ashrrev_i32_e32 v12, 31, v11
	s_cselect_b64 s[6:7], -1, 0
	v_mov_b32_e32 v13, v12
	s_cmp_lg_u64 s[6:7], 0
	v_lshl_add_u64 v[10:11], v[10:11], 0, v[12:13]
	s_addc_u32 s61, s65, s61
	v_xor_b32_e32 v13, v10, v12
	v_xor_b32_e32 v3, v11, v12
	v_mad_u64_u32 v[10:11], s[6:7], v13, s61, 0
	v_mul_hi_u32 v14, v13, s64
	v_lshl_add_u64 v[10:11], v[14:15], 0, v[10:11]
	v_mad_u64_u32 v[16:17], s[6:7], v3, s64, 0
	v_add_co_u32_e32 v10, vcc, v10, v16
	v_mad_u64_u32 v[14:15], s[6:7], v3, s61, 0
	s_nop 0
	v_addc_co_u32_e32 v10, vcc, v11, v17, vcc
	v_mov_b32_e32 v11, v2
	s_nop 0
	v_addc_co_u32_e32 v15, vcc, 0, v15, vcc
	v_lshl_add_u64 v[10:11], v[10:11], 0, v[14:15]
	v_mul_lo_u32 v16, s63, v10
	v_mul_lo_u32 v17, s62, v11
	v_mad_u64_u32 v[14:15], s[6:7], s62, v10, 0
	v_add3_u32 v18, v15, v17, v16
	v_sub_u32_e32 v15, v3, v18
	v_mov_b32_e32 v16, s63
	v_sub_co_u32_e32 v13, vcc, v13, v14
	s_nop 1
	v_subb_co_u32_e64 v14, s[6:7], v15, v16, vcc
	v_subrev_co_u32_e64 v15, s[6:7], s62, v13
	v_subb_co_u32_e32 v3, vcc, v3, v18, vcc
	s_nop 0
	v_subbrev_co_u32_e64 v14, s[6:7], 0, v14, s[6:7]
	v_cmp_le_u32_e64 s[6:7], s63, v14
	v_cmp_le_u32_e32 vcc, s63, v3
	s_nop 0
	v_cndmask_b32_e64 v16, 0, -1, s[6:7]
	v_cmp_le_u32_e64 s[6:7], s62, v15
	s_nop 1
	v_cndmask_b32_e64 v15, 0, -1, s[6:7]
	v_cmp_eq_u32_e64 s[6:7], s63, v14
	s_nop 1
	v_cndmask_b32_e64 v19, v16, v15, s[6:7]
	v_lshl_add_u64 v[14:15], v[10:11], 0, 2
	v_lshl_add_u64 v[16:17], v[10:11], 0, 1
	v_cmp_ne_u32_e64 s[6:7], 0, v19
	s_nop 1
	v_cndmask_b32_e64 v15, v17, v15, s[6:7]
	v_cndmask_b32_e64 v17, 0, -1, vcc
	v_cmp_le_u32_e32 vcc, s62, v13
	s_nop 1
	v_cndmask_b32_e64 v13, 0, -1, vcc
	v_cmp_eq_u32_e32 vcc, s63, v3
	s_nop 1
	v_cndmask_b32_e32 v3, v17, v13, vcc
	v_cmp_ne_u32_e32 vcc, 0, v3
	s_nop 1
	v_cndmask_b32_e32 v3, v11, v15, vcc
	v_cndmask_b32_e64 v11, v16, v14, s[6:7]
	v_cndmask_b32_e32 v10, v10, v11, vcc
	v_xor_b32_e32 v11, s60, v12
	v_xor_b32_e32 v10, v10, v11
	;; [unrolled: 1-line block ×3, first 2 shown]
	v_sub_co_u32_e32 v12, vcc, v10, v11
	s_nop 1
	v_subb_co_u32_e32 v13, vcc, v3, v11, vcc
                                        ; implicit-def: $vgpr10_vgpr11
	s_andn2_saveexec_b64 s[6:7], s[8:9]
	s_cbranch_execz .LBB27_25
.LBB27_27:                              ;   in Loop: Header=BB27_3 Depth=1
	v_cvt_f32_u32_e32 v3, s84
	s_sub_i32 s8, 0, s84
	v_mov_b32_e32 v13, v2
	v_rcp_iflag_f32_e32 v3, v3
	s_nop 0
	v_mul_f32_e32 v3, 0x4f7ffffe, v3
	v_cvt_u32_f32_e32 v3, v3
	v_mul_lo_u32 v11, s8, v3
	v_mul_hi_u32 v11, v3, v11
	v_add_u32_e32 v3, v3, v11
	v_mul_hi_u32 v3, v10, v3
	v_mul_lo_u32 v11, v3, s84
	v_sub_u32_e32 v10, v10, v11
	v_add_u32_e32 v12, 1, v3
	v_subrev_u32_e32 v11, s84, v10
	v_cmp_le_u32_e32 vcc, s84, v10
	s_nop 1
	v_cndmask_b32_e32 v10, v10, v11, vcc
	v_cndmask_b32_e32 v3, v3, v12, vcc
	v_add_u32_e32 v11, 1, v3
	v_cmp_le_u32_e32 vcc, s84, v10
	s_nop 1
	v_cndmask_b32_e32 v12, v3, v11, vcc
	s_or_b64 exec, exec, s[6:7]
	s_andn2_b64 vcc, exec, s[0:1]
	s_cbranch_vccnz .LBB27_2
.LBB27_28:                              ;   in Loop: Header=BB27_3 Depth=1
	v_lshl_add_u64 v[10:11], v[12:13], 0, 1
	v_mov_b32_e32 v3, s27
	v_cmp_gt_i64_e32 vcc, s[26:27], v[10:11]
	s_load_dword s86, s[28:29], 0x4
	v_lshl_add_u64 v[6:7], v[6:7], 0, 1
	v_cndmask_b32_e32 v11, v3, v11, vcc
	v_mov_b32_e32 v3, s26
	v_cndmask_b32_e32 v10, v3, v10, vcc
	v_mov_b32_e32 v3, s25
	v_cmp_gt_i64_e32 vcc, s[24:25], v[6:7]
	v_lshl_add_u64 v[14:15], s[44:45], 0, v[4:5]
	v_mad_u64_u32 v[16:17], s[60:61], s26, v14, v[8:9]
	v_cndmask_b32_e32 v7, v3, v7, vcc
	v_mov_b32_e32 v3, s24
	v_cndmask_b32_e32 v6, v3, v6, vcc
	v_mul_lo_u32 v3, s26, v15
	v_mul_lo_u32 v15, s27, v14
	v_add3_u32 v17, v15, v17, v3
	s_waitcnt lgkmcnt(0)
	s_mul_i32 s60, s47, s86
	s_mul_hi_u32 s61, s46, s86
	s_mul_i32 s62, s53, s86
	s_mul_hi_u32 s63, s52, s86
	v_lshl_add_u64 v[12:13], v[0:1], 1, s[30:31]
	v_cmp_lt_i64_e64 s[6:7], v[4:5], v[6:7]
	v_cmp_lt_i64_e64 s[8:9], v[8:9], v[10:11]
	v_lshl_add_u64 v[14:15], v[16:17], 3, s[14:15]
	s_add_i32 s61, s61, s60
	s_mul_i32 s60, s46, s86
	v_lshl_add_u64 v[16:17], v[16:17], 1, s[12:13]
	s_add_i32 s63, s63, s62
	s_mul_i32 s62, s52, s86
	s_mov_b64 s[64:65], s[10:11]
	s_branch .LBB27_30
.LBB27_29:                              ;   in Loop: Header=BB27_30 Depth=2
	s_add_u32 s64, s64, s86
	s_addc_u32 s65, s65, 0
	v_mov_b64_e32 v[18:19], s[16:17]
	v_cmp_ge_i64_e32 vcc, s[64:65], v[18:19]
	v_lshl_add_u64 v[14:15], v[14:15], 0, s[60:61]
	v_lshl_add_u64 v[16:17], v[16:17], 0, s[62:63]
	s_cbranch_vccnz .LBB27_2
.LBB27_30:                              ;   Parent Loop BB27_3 Depth=1
                                        ; =>  This Loop Header: Depth=2
                                        ;       Child Loop BB27_34 Depth 3
                                        ;         Child Loop BB27_38 Depth 4
                                        ;           Child Loop BB27_41 Depth 5
	s_andn2_b64 vcc, exec, s[2:3]
	s_cbranch_vccnz .LBB27_29
; %bb.31:                               ;   in Loop: Header=BB27_30 Depth=2
	s_load_dword s87, s[28:29], 0x8
	s_mul_i32 s66, s64, s19
	s_mul_hi_u32 s67, s64, s18
	s_add_i32 s66, s67, s66
	s_mul_i32 s67, s65, s18
	s_add_i32 s88, s66, s67
	s_waitcnt lgkmcnt(0)
	s_mul_i32 s66, s49, s87
	s_mul_hi_u32 s67, s48, s87
	s_mul_i32 s68, s55, s87
	s_mul_hi_u32 s69, s54, s87
	s_mul_i32 s89, s64, s18
	s_add_i32 s67, s67, s66
	s_mul_i32 s66, s48, s87
	s_add_i32 s69, s69, s68
	s_mul_i32 s68, s54, s87
	v_mov_b64_e32 v[18:19], v[16:17]
	v_mov_b64_e32 v[20:21], v[14:15]
	s_mov_b64 s[70:71], s[4:5]
	s_branch .LBB27_34
.LBB27_32:                              ;   in Loop: Header=BB27_34 Depth=3
	s_or_b64 exec, exec, s[74:75]
.LBB27_33:                              ;   in Loop: Header=BB27_34 Depth=3
	s_or_b64 exec, exec, s[72:73]
	s_add_u32 s72, s70, s89
	s_addc_u32 s73, s71, s88
	s_mul_i32 s73, s20, s73
	s_mul_hi_u32 s74, s20, s72
	v_bfe_u32 v22, v3, 16, 1
	s_add_i32 s73, s74, s73
	s_mul_i32 s74, s21, s72
	v_add3_u32 v22, v3, v22, s85
	v_cmp_o_f32_e32 vcc, v3, v3
	s_add_i32 s73, s73, s74
	s_mul_i32 s72, s20, s72
	v_cndmask_b32_sdwa v3, v35, v22, vcc dst_sel:DWORD dst_unused:UNUSED_PAD src0_sel:DWORD src1_sel:WORD_1
	v_lshl_add_u64 v[22:23], s[72:73], 1, v[12:13]
	s_add_u32 s70, s70, s87
	global_store_short v[22:23], v3, off
	s_addc_u32 s71, s71, 0
	v_mov_b64_e32 v[22:23], s[18:19]
	v_cmp_ge_i64_e32 vcc, s[70:71], v[22:23]
	v_lshl_add_u64 v[20:21], v[20:21], 0, s[66:67]
	v_lshl_add_u64 v[18:19], v[18:19], 0, s[68:69]
	s_cbranch_vccnz .LBB27_29
.LBB27_34:                              ;   Parent Loop BB27_3 Depth=1
                                        ;     Parent Loop BB27_30 Depth=2
                                        ; =>    This Loop Header: Depth=3
                                        ;         Child Loop BB27_38 Depth 4
                                        ;           Child Loop BB27_41 Depth 5
	v_mov_b32_e32 v3, 0
	s_and_saveexec_b64 s[72:73], s[6:7]
	s_cbranch_execz .LBB27_33
; %bb.35:                               ;   in Loop: Header=BB27_34 Depth=3
	v_mov_b32_e32 v3, 0
	s_mov_b64 s[74:75], 0
	v_mov_b64_e32 v[22:23], v[18:19]
	v_mov_b64_e32 v[24:25], v[20:21]
	;; [unrolled: 1-line block ×3, first 2 shown]
	s_branch .LBB27_38
.LBB27_36:                              ;   in Loop: Header=BB27_38 Depth=4
	s_or_b64 exec, exec, s[78:79]
.LBB27_37:                              ;   in Loop: Header=BB27_38 Depth=4
	s_or_b64 exec, exec, s[76:77]
	v_lshl_add_u64 v[26:27], v[26:27], 0, 1
	v_cmp_ge_i64_e32 vcc, v[26:27], v[6:7]
	v_lshl_add_u64 v[24:25], v[24:25], 0, s[50:51]
	s_or_b64 s[74:75], vcc, s[74:75]
	v_lshl_add_u64 v[22:23], v[22:23], 0, s[56:57]
	s_andn2_b64 exec, exec, s[74:75]
	s_cbranch_execz .LBB27_32
.LBB27_38:                              ;   Parent Loop BB27_3 Depth=1
                                        ;     Parent Loop BB27_30 Depth=2
                                        ;       Parent Loop BB27_34 Depth=3
                                        ; =>      This Loop Header: Depth=4
                                        ;           Child Loop BB27_41 Depth 5
	s_and_saveexec_b64 s[76:77], s[8:9]
	s_cbranch_execz .LBB27_37
; %bb.39:                               ;   in Loop: Header=BB27_38 Depth=4
	s_mov_b64 s[78:79], 0
	v_mov_b64_e32 v[28:29], v[22:23]
	v_mov_b64_e32 v[30:31], v[24:25]
	;; [unrolled: 1-line block ×3, first 2 shown]
	s_branch .LBB27_41
.LBB27_40:                              ;   in Loop: Header=BB27_41 Depth=5
	s_or_b64 exec, exec, s[80:81]
	v_lshl_add_u64 v[32:33], v[32:33], 0, 1
	v_cmp_ge_i64_e32 vcc, v[32:33], v[10:11]
	v_lshl_add_u64 v[30:31], v[30:31], 0, 8
	s_or_b64 s[78:79], vcc, s[78:79]
	v_lshl_add_u64 v[28:29], v[28:29], 0, 2
	s_andn2_b64 exec, exec, s[78:79]
	s_cbranch_execz .LBB27_36
.LBB27_41:                              ;   Parent Loop BB27_3 Depth=1
                                        ;     Parent Loop BB27_30 Depth=2
                                        ;       Parent Loop BB27_34 Depth=3
                                        ;         Parent Loop BB27_38 Depth=4
                                        ; =>        This Inner Loop Header: Depth=5
	global_load_dwordx2 v[36:37], v[30:31], off
	s_waitcnt vmcnt(0)
	v_cmp_eq_u64_e32 vcc, v[36:37], v[0:1]
	s_and_saveexec_b64 s[80:81], vcc
	s_cbranch_execz .LBB27_40
; %bb.42:                               ;   in Loop: Header=BB27_41 Depth=5
	global_load_ushort v36, v[28:29], off
	s_waitcnt vmcnt(0)
	v_lshlrev_b32_e32 v36, 16, v36
	v_add_f32_e32 v3, v3, v36
	s_branch .LBB27_40
.LBB27_43:
	s_endpgm
	.section	.rodata,"a",@progbits
	.p2align	6, 0x0
	.amdhsa_kernel _ZN2at6native12_GLOBAL__N_122max_pool_backward_nchwIN3c108BFloat16EflEEvPKT_PKlT1_SA_SA_SA_SA_SA_iiiiiiiiPS5_
		.amdhsa_group_segment_fixed_size 0
		.amdhsa_private_segment_fixed_size 0
		.amdhsa_kernarg_size 360
		.amdhsa_user_sgpr_count 2
		.amdhsa_user_sgpr_dispatch_ptr 0
		.amdhsa_user_sgpr_queue_ptr 0
		.amdhsa_user_sgpr_kernarg_segment_ptr 1
		.amdhsa_user_sgpr_dispatch_id 0
		.amdhsa_user_sgpr_kernarg_preload_length 0
		.amdhsa_user_sgpr_kernarg_preload_offset 0
		.amdhsa_user_sgpr_private_segment_size 0
		.amdhsa_uses_dynamic_stack 0
		.amdhsa_enable_private_segment 0
		.amdhsa_system_sgpr_workgroup_id_x 1
		.amdhsa_system_sgpr_workgroup_id_y 1
		.amdhsa_system_sgpr_workgroup_id_z 1
		.amdhsa_system_sgpr_workgroup_info 0
		.amdhsa_system_vgpr_workitem_id 0
		.amdhsa_next_free_vgpr 38
		.amdhsa_next_free_sgpr 90
		.amdhsa_accum_offset 40
		.amdhsa_reserve_vcc 1
		.amdhsa_float_round_mode_32 0
		.amdhsa_float_round_mode_16_64 0
		.amdhsa_float_denorm_mode_32 3
		.amdhsa_float_denorm_mode_16_64 3
		.amdhsa_dx10_clamp 1
		.amdhsa_ieee_mode 1
		.amdhsa_fp16_overflow 0
		.amdhsa_tg_split 0
		.amdhsa_exception_fp_ieee_invalid_op 0
		.amdhsa_exception_fp_denorm_src 0
		.amdhsa_exception_fp_ieee_div_zero 0
		.amdhsa_exception_fp_ieee_overflow 0
		.amdhsa_exception_fp_ieee_underflow 0
		.amdhsa_exception_fp_ieee_inexact 0
		.amdhsa_exception_int_div_zero 0
	.end_amdhsa_kernel
	.section	.text._ZN2at6native12_GLOBAL__N_122max_pool_backward_nchwIN3c108BFloat16EflEEvPKT_PKlT1_SA_SA_SA_SA_SA_iiiiiiiiPS5_,"axG",@progbits,_ZN2at6native12_GLOBAL__N_122max_pool_backward_nchwIN3c108BFloat16EflEEvPKT_PKlT1_SA_SA_SA_SA_SA_iiiiiiiiPS5_,comdat
.Lfunc_end27:
	.size	_ZN2at6native12_GLOBAL__N_122max_pool_backward_nchwIN3c108BFloat16EflEEvPKT_PKlT1_SA_SA_SA_SA_SA_iiiiiiiiPS5_, .Lfunc_end27-_ZN2at6native12_GLOBAL__N_122max_pool_backward_nchwIN3c108BFloat16EflEEvPKT_PKlT1_SA_SA_SA_SA_SA_iiiiiiiiPS5_
                                        ; -- End function
	.set _ZN2at6native12_GLOBAL__N_122max_pool_backward_nchwIN3c108BFloat16EflEEvPKT_PKlT1_SA_SA_SA_SA_SA_iiiiiiiiPS5_.num_vgpr, 38
	.set _ZN2at6native12_GLOBAL__N_122max_pool_backward_nchwIN3c108BFloat16EflEEvPKT_PKlT1_SA_SA_SA_SA_SA_iiiiiiiiPS5_.num_agpr, 0
	.set _ZN2at6native12_GLOBAL__N_122max_pool_backward_nchwIN3c108BFloat16EflEEvPKT_PKlT1_SA_SA_SA_SA_SA_iiiiiiiiPS5_.numbered_sgpr, 90
	.set _ZN2at6native12_GLOBAL__N_122max_pool_backward_nchwIN3c108BFloat16EflEEvPKT_PKlT1_SA_SA_SA_SA_SA_iiiiiiiiPS5_.num_named_barrier, 0
	.set _ZN2at6native12_GLOBAL__N_122max_pool_backward_nchwIN3c108BFloat16EflEEvPKT_PKlT1_SA_SA_SA_SA_SA_iiiiiiiiPS5_.private_seg_size, 0
	.set _ZN2at6native12_GLOBAL__N_122max_pool_backward_nchwIN3c108BFloat16EflEEvPKT_PKlT1_SA_SA_SA_SA_SA_iiiiiiiiPS5_.uses_vcc, 1
	.set _ZN2at6native12_GLOBAL__N_122max_pool_backward_nchwIN3c108BFloat16EflEEvPKT_PKlT1_SA_SA_SA_SA_SA_iiiiiiiiPS5_.uses_flat_scratch, 0
	.set _ZN2at6native12_GLOBAL__N_122max_pool_backward_nchwIN3c108BFloat16EflEEvPKT_PKlT1_SA_SA_SA_SA_SA_iiiiiiiiPS5_.has_dyn_sized_stack, 0
	.set _ZN2at6native12_GLOBAL__N_122max_pool_backward_nchwIN3c108BFloat16EflEEvPKT_PKlT1_SA_SA_SA_SA_SA_iiiiiiiiPS5_.has_recursion, 0
	.set _ZN2at6native12_GLOBAL__N_122max_pool_backward_nchwIN3c108BFloat16EflEEvPKT_PKlT1_SA_SA_SA_SA_SA_iiiiiiiiPS5_.has_indirect_call, 0
	.section	.AMDGPU.csdata,"",@progbits
; Kernel info:
; codeLenInByte = 5196
; TotalNumSgprs: 96
; NumVgprs: 38
; NumAgprs: 0
; TotalNumVgprs: 38
; ScratchSize: 0
; MemoryBound: 0
; FloatMode: 240
; IeeeMode: 1
; LDSByteSize: 0 bytes/workgroup (compile time only)
; SGPRBlocks: 11
; VGPRBlocks: 4
; NumSGPRsForWavesPerEU: 96
; NumVGPRsForWavesPerEU: 38
; AccumOffset: 40
; Occupancy: 8
; WaveLimiterHint : 0
; COMPUTE_PGM_RSRC2:SCRATCH_EN: 0
; COMPUTE_PGM_RSRC2:USER_SGPR: 2
; COMPUTE_PGM_RSRC2:TRAP_HANDLER: 0
; COMPUTE_PGM_RSRC2:TGID_X_EN: 1
; COMPUTE_PGM_RSRC2:TGID_Y_EN: 1
; COMPUTE_PGM_RSRC2:TGID_Z_EN: 1
; COMPUTE_PGM_RSRC2:TIDIG_COMP_CNT: 0
; COMPUTE_PGM_RSRC3_GFX90A:ACCUM_OFFSET: 9
; COMPUTE_PGM_RSRC3_GFX90A:TG_SPLIT: 0
	.section	.AMDGPU.gpr_maximums,"",@progbits
	.set amdgpu.max_num_vgpr, 0
	.set amdgpu.max_num_agpr, 0
	.set amdgpu.max_num_sgpr, 0
	.section	.AMDGPU.csdata,"",@progbits
	.type	__hip_cuid_cd512518c186eda8,@object ; @__hip_cuid_cd512518c186eda8
	.section	.bss,"aw",@nobits
	.globl	__hip_cuid_cd512518c186eda8
__hip_cuid_cd512518c186eda8:
	.byte	0                               ; 0x0
	.size	__hip_cuid_cd512518c186eda8, 1

	.ident	"AMD clang version 22.0.0git (https://github.com/RadeonOpenCompute/llvm-project roc-7.2.4 26084 f58b06dce1f9c15707c5f808fd002e18c2accf7e)"
	.section	".note.GNU-stack","",@progbits
	.addrsig
	.addrsig_sym __hip_cuid_cd512518c186eda8
	.amdgpu_metadata
---
amdhsa.kernels:
  - .agpr_count:     0
    .args:
      - .address_space:  global
        .offset:         0
        .size:           8
        .value_kind:     global_buffer
      - .offset:         8
        .size:           4
        .value_kind:     by_value
      - .offset:         12
        .size:           4
        .value_kind:     by_value
      - .offset:         16
        .size:           4
        .value_kind:     by_value
      - .offset:         20
        .size:           4
        .value_kind:     by_value
      - .offset:         24
        .size:           4
        .value_kind:     by_value
      - .offset:         28
        .size:           4
        .value_kind:     by_value
      - .offset:         32
        .size:           4
        .value_kind:     by_value
      - .offset:         36
        .size:           4
        .value_kind:     by_value
      - .offset:         40
        .size:           4
        .value_kind:     by_value
      - .offset:         44
        .size:           4
        .value_kind:     by_value
      - .offset:         48
        .size:           4
        .value_kind:     by_value
      - .offset:         52
        .size:           4
        .value_kind:     by_value
      - .offset:         56
        .size:           4
        .value_kind:     by_value
      - .offset:         60
        .size:           4
        .value_kind:     by_value
      - .offset:         64
        .size:           4
        .value_kind:     by_value
      - .offset:         68
        .size:           4
        .value_kind:     by_value
      - .offset:         72
        .size:           4
        .value_kind:     by_value
      - .offset:         76
        .size:           4
        .value_kind:     by_value
      - .offset:         80
        .size:           4
        .value_kind:     by_value
      - .offset:         84
        .size:           4
        .value_kind:     by_value
      - .address_space:  global
        .offset:         88
        .size:           8
        .value_kind:     global_buffer
      - .address_space:  global
        .offset:         96
        .size:           8
        .value_kind:     global_buffer
      - .offset:         104
        .size:           4
        .value_kind:     hidden_block_count_x
      - .offset:         108
        .size:           4
        .value_kind:     hidden_block_count_y
      - .offset:         112
        .size:           4
        .value_kind:     hidden_block_count_z
      - .offset:         116
        .size:           2
        .value_kind:     hidden_group_size_x
      - .offset:         118
        .size:           2
        .value_kind:     hidden_group_size_y
      - .offset:         120
        .size:           2
        .value_kind:     hidden_group_size_z
      - .offset:         122
        .size:           2
        .value_kind:     hidden_remainder_x
      - .offset:         124
        .size:           2
        .value_kind:     hidden_remainder_y
      - .offset:         126
        .size:           2
        .value_kind:     hidden_remainder_z
      - .offset:         144
        .size:           8
        .value_kind:     hidden_global_offset_x
      - .offset:         152
        .size:           8
        .value_kind:     hidden_global_offset_y
      - .offset:         160
        .size:           8
        .value_kind:     hidden_global_offset_z
      - .offset:         168
        .size:           2
        .value_kind:     hidden_grid_dims
      - .offset:         224
        .size:           4
        .value_kind:     hidden_dynamic_lds_size
    .group_segment_fixed_size: 0
    .kernarg_segment_align: 8
    .kernarg_segment_size: 360
    .language:       OpenCL C
    .language_version:
      - 2
      - 0
    .max_flat_workgroup_size: 256
    .name:           _ZN2at6native12_GLOBAL__N_121max_pool_forward_nhwcIdiEEvPKT_iT0_S6_S6_S6_S6_iiiiiiiiS6_S6_S6_S6_iiPS3_Pl
    .private_segment_fixed_size: 0
    .sgpr_count:     73
    .sgpr_spill_count: 0
    .symbol:         _ZN2at6native12_GLOBAL__N_121max_pool_forward_nhwcIdiEEvPKT_iT0_S6_S6_S6_S6_iiiiiiiiS6_S6_S6_S6_iiPS3_Pl.kd
    .uniform_work_group_size: 1
    .uses_dynamic_stack: false
    .vgpr_count:     53
    .vgpr_spill_count: 0
    .wavefront_size: 64
  - .agpr_count:     0
    .args:
      - .address_space:  global
        .offset:         0
        .size:           8
        .value_kind:     global_buffer
      - .offset:         8
        .size:           4
        .value_kind:     by_value
      - .offset:         16
        .size:           8
        .value_kind:     by_value
      - .offset:         24
        .size:           8
        .value_kind:     by_value
      - .offset:         32
        .size:           8
        .value_kind:     by_value
      - .offset:         40
        .size:           8
        .value_kind:     by_value
      - .offset:         48
        .size:           8
        .value_kind:     by_value
      - .offset:         56
        .size:           4
        .value_kind:     by_value
      - .offset:         60
        .size:           4
        .value_kind:     by_value
      - .offset:         64
        .size:           4
        .value_kind:     by_value
      - .offset:         68
        .size:           4
        .value_kind:     by_value
      - .offset:         72
        .size:           4
        .value_kind:     by_value
      - .offset:         76
        .size:           4
        .value_kind:     by_value
      - .offset:         80
        .size:           4
        .value_kind:     by_value
      - .offset:         84
        .size:           4
        .value_kind:     by_value
      - .offset:         88
        .size:           8
        .value_kind:     by_value
      - .offset:         96
        .size:           8
        .value_kind:     by_value
      - .offset:         104
        .size:           8
        .value_kind:     by_value
      - .offset:         112
        .size:           8
        .value_kind:     by_value
      - .offset:         120
        .size:           4
        .value_kind:     by_value
      - .offset:         124
        .size:           4
        .value_kind:     by_value
      - .address_space:  global
        .offset:         128
        .size:           8
        .value_kind:     global_buffer
      - .address_space:  global
        .offset:         136
        .size:           8
        .value_kind:     global_buffer
      - .offset:         144
        .size:           4
        .value_kind:     hidden_block_count_x
      - .offset:         148
        .size:           4
        .value_kind:     hidden_block_count_y
      - .offset:         152
        .size:           4
        .value_kind:     hidden_block_count_z
      - .offset:         156
        .size:           2
        .value_kind:     hidden_group_size_x
      - .offset:         158
        .size:           2
        .value_kind:     hidden_group_size_y
      - .offset:         160
        .size:           2
        .value_kind:     hidden_group_size_z
      - .offset:         162
        .size:           2
        .value_kind:     hidden_remainder_x
      - .offset:         164
        .size:           2
        .value_kind:     hidden_remainder_y
      - .offset:         166
        .size:           2
        .value_kind:     hidden_remainder_z
      - .offset:         184
        .size:           8
        .value_kind:     hidden_global_offset_x
      - .offset:         192
        .size:           8
        .value_kind:     hidden_global_offset_y
      - .offset:         200
        .size:           8
        .value_kind:     hidden_global_offset_z
      - .offset:         208
        .size:           2
        .value_kind:     hidden_grid_dims
      - .offset:         264
        .size:           4
        .value_kind:     hidden_dynamic_lds_size
    .group_segment_fixed_size: 0
    .kernarg_segment_align: 8
    .kernarg_segment_size: 400
    .language:       OpenCL C
    .language_version:
      - 2
      - 0
    .max_flat_workgroup_size: 256
    .name:           _ZN2at6native12_GLOBAL__N_121max_pool_forward_nhwcIdlEEvPKT_iT0_S6_S6_S6_S6_iiiiiiiiS6_S6_S6_S6_iiPS3_Pl
    .private_segment_fixed_size: 0
    .sgpr_count:     86
    .sgpr_spill_count: 0
    .symbol:         _ZN2at6native12_GLOBAL__N_121max_pool_forward_nhwcIdlEEvPKT_iT0_S6_S6_S6_S6_iiiiiiiiS6_S6_S6_S6_iiPS3_Pl.kd
    .uniform_work_group_size: 1
    .uses_dynamic_stack: false
    .vgpr_count:     72
    .vgpr_spill_count: 0
    .wavefront_size: 64
  - .agpr_count:     0
    .args:
      - .offset:         0
        .size:           4
        .value_kind:     by_value
      - .address_space:  global
        .offset:         8
        .size:           8
        .value_kind:     global_buffer
      - .offset:         16
        .size:           8
        .value_kind:     by_value
      - .offset:         24
        .size:           8
        .value_kind:     by_value
      - .offset:         32
        .size:           8
        .value_kind:     by_value
      - .offset:         40
        .size:           4
        .value_kind:     by_value
      - .offset:         44
        .size:           4
        .value_kind:     by_value
      - .offset:         48
        .size:           4
        .value_kind:     by_value
      - .offset:         52
        .size:           4
        .value_kind:     by_value
      - .offset:         56
        .size:           4
        .value_kind:     by_value
      - .offset:         60
        .size:           4
        .value_kind:     by_value
      - .offset:         64
        .size:           4
        .value_kind:     by_value
      - .offset:         68
        .size:           4
        .value_kind:     by_value
      - .offset:         72
        .size:           4
        .value_kind:     by_value
      - .offset:         76
        .size:           4
        .value_kind:     by_value
      - .address_space:  global
        .offset:         80
        .size:           8
        .value_kind:     global_buffer
      - .address_space:  global
        .offset:         88
        .size:           8
        .value_kind:     global_buffer
      - .offset:         96
        .size:           4
        .value_kind:     hidden_block_count_x
      - .offset:         100
        .size:           4
        .value_kind:     hidden_block_count_y
      - .offset:         104
        .size:           4
        .value_kind:     hidden_block_count_z
      - .offset:         108
        .size:           2
        .value_kind:     hidden_group_size_x
      - .offset:         110
        .size:           2
        .value_kind:     hidden_group_size_y
      - .offset:         112
        .size:           2
        .value_kind:     hidden_group_size_z
      - .offset:         114
        .size:           2
        .value_kind:     hidden_remainder_x
      - .offset:         116
        .size:           2
        .value_kind:     hidden_remainder_y
      - .offset:         118
        .size:           2
        .value_kind:     hidden_remainder_z
      - .offset:         136
        .size:           8
        .value_kind:     hidden_global_offset_x
      - .offset:         144
        .size:           8
        .value_kind:     hidden_global_offset_y
      - .offset:         152
        .size:           8
        .value_kind:     hidden_global_offset_z
      - .offset:         160
        .size:           2
        .value_kind:     hidden_grid_dims
    .group_segment_fixed_size: 0
    .kernarg_segment_align: 8
    .kernarg_segment_size: 352
    .language:       OpenCL C
    .language_version:
      - 2
      - 0
    .max_flat_workgroup_size: 1024
    .name:           _ZN2at6native12_GLOBAL__N_121max_pool_forward_nchwIdiEEvT0_PKT_llliiiiiiiiiiPS4_Pl
    .private_segment_fixed_size: 0
    .sgpr_count:     61
    .sgpr_spill_count: 0
    .symbol:         _ZN2at6native12_GLOBAL__N_121max_pool_forward_nchwIdiEEvT0_PKT_llliiiiiiiiiiPS4_Pl.kd
    .uniform_work_group_size: 1
    .uses_dynamic_stack: false
    .vgpr_count:     22
    .vgpr_spill_count: 0
    .wavefront_size: 64
  - .agpr_count:     0
    .args:
      - .offset:         0
        .size:           8
        .value_kind:     by_value
      - .address_space:  global
        .offset:         8
        .size:           8
        .value_kind:     global_buffer
      - .offset:         16
        .size:           8
        .value_kind:     by_value
      - .offset:         24
        .size:           8
        .value_kind:     by_value
      - .offset:         32
        .size:           8
        .value_kind:     by_value
      - .offset:         40
        .size:           4
        .value_kind:     by_value
      - .offset:         44
        .size:           4
        .value_kind:     by_value
      - .offset:         48
        .size:           4
        .value_kind:     by_value
      - .offset:         52
        .size:           4
        .value_kind:     by_value
      - .offset:         56
        .size:           4
        .value_kind:     by_value
      - .offset:         60
        .size:           4
        .value_kind:     by_value
      - .offset:         64
        .size:           4
        .value_kind:     by_value
      - .offset:         68
        .size:           4
        .value_kind:     by_value
      - .offset:         72
        .size:           4
        .value_kind:     by_value
      - .offset:         76
        .size:           4
        .value_kind:     by_value
      - .address_space:  global
        .offset:         80
        .size:           8
        .value_kind:     global_buffer
      - .address_space:  global
        .offset:         88
        .size:           8
        .value_kind:     global_buffer
      - .offset:         96
        .size:           4
        .value_kind:     hidden_block_count_x
      - .offset:         100
        .size:           4
        .value_kind:     hidden_block_count_y
      - .offset:         104
        .size:           4
        .value_kind:     hidden_block_count_z
      - .offset:         108
        .size:           2
        .value_kind:     hidden_group_size_x
      - .offset:         110
        .size:           2
        .value_kind:     hidden_group_size_y
      - .offset:         112
        .size:           2
        .value_kind:     hidden_group_size_z
      - .offset:         114
        .size:           2
        .value_kind:     hidden_remainder_x
      - .offset:         116
        .size:           2
        .value_kind:     hidden_remainder_y
      - .offset:         118
        .size:           2
        .value_kind:     hidden_remainder_z
      - .offset:         136
        .size:           8
        .value_kind:     hidden_global_offset_x
      - .offset:         144
        .size:           8
        .value_kind:     hidden_global_offset_y
      - .offset:         152
        .size:           8
        .value_kind:     hidden_global_offset_z
      - .offset:         160
        .size:           2
        .value_kind:     hidden_grid_dims
    .group_segment_fixed_size: 0
    .kernarg_segment_align: 8
    .kernarg_segment_size: 352
    .language:       OpenCL C
    .language_version:
      - 2
      - 0
    .max_flat_workgroup_size: 1024
    .name:           _ZN2at6native12_GLOBAL__N_121max_pool_forward_nchwIdlEEvT0_PKT_llliiiiiiiiiiPS4_Pl
    .private_segment_fixed_size: 0
    .sgpr_count:     65
    .sgpr_spill_count: 0
    .symbol:         _ZN2at6native12_GLOBAL__N_121max_pool_forward_nchwIdlEEvT0_PKT_llliiiiiiiiiiPS4_Pl.kd
    .uniform_work_group_size: 1
    .uses_dynamic_stack: false
    .vgpr_count:     26
    .vgpr_spill_count: 0
    .wavefront_size: 64
  - .agpr_count:     0
    .args:
      - .address_space:  global
        .offset:         0
        .size:           8
        .value_kind:     global_buffer
      - .offset:         8
        .size:           4
        .value_kind:     by_value
      - .offset:         12
        .size:           4
        .value_kind:     by_value
      - .offset:         16
        .size:           4
        .value_kind:     by_value
      - .offset:         20
        .size:           4
        .value_kind:     by_value
      - .offset:         24
        .size:           4
        .value_kind:     by_value
      - .offset:         28
        .size:           4
        .value_kind:     by_value
      - .offset:         32
        .size:           4
        .value_kind:     by_value
      - .offset:         36
        .size:           4
        .value_kind:     by_value
      - .offset:         40
        .size:           4
        .value_kind:     by_value
      - .offset:         44
        .size:           4
        .value_kind:     by_value
      - .offset:         48
        .size:           4
        .value_kind:     by_value
      - .offset:         52
        .size:           4
        .value_kind:     by_value
      - .offset:         56
        .size:           4
        .value_kind:     by_value
      - .offset:         60
        .size:           4
        .value_kind:     by_value
      - .offset:         64
        .size:           4
        .value_kind:     by_value
      - .offset:         68
        .size:           4
        .value_kind:     by_value
      - .offset:         72
        .size:           4
        .value_kind:     by_value
      - .offset:         76
        .size:           4
        .value_kind:     by_value
      - .offset:         80
        .size:           4
        .value_kind:     by_value
      - .offset:         84
        .size:           4
        .value_kind:     by_value
      - .address_space:  global
        .offset:         88
        .size:           8
        .value_kind:     global_buffer
      - .address_space:  global
        .offset:         96
        .size:           8
        .value_kind:     global_buffer
      - .offset:         104
        .size:           4
        .value_kind:     hidden_block_count_x
      - .offset:         108
        .size:           4
        .value_kind:     hidden_block_count_y
      - .offset:         112
        .size:           4
        .value_kind:     hidden_block_count_z
      - .offset:         116
        .size:           2
        .value_kind:     hidden_group_size_x
      - .offset:         118
        .size:           2
        .value_kind:     hidden_group_size_y
      - .offset:         120
        .size:           2
        .value_kind:     hidden_group_size_z
      - .offset:         122
        .size:           2
        .value_kind:     hidden_remainder_x
      - .offset:         124
        .size:           2
        .value_kind:     hidden_remainder_y
      - .offset:         126
        .size:           2
        .value_kind:     hidden_remainder_z
      - .offset:         144
        .size:           8
        .value_kind:     hidden_global_offset_x
      - .offset:         152
        .size:           8
        .value_kind:     hidden_global_offset_y
      - .offset:         160
        .size:           8
        .value_kind:     hidden_global_offset_z
      - .offset:         168
        .size:           2
        .value_kind:     hidden_grid_dims
      - .offset:         224
        .size:           4
        .value_kind:     hidden_dynamic_lds_size
    .group_segment_fixed_size: 0
    .kernarg_segment_align: 8
    .kernarg_segment_size: 360
    .language:       OpenCL C
    .language_version:
      - 2
      - 0
    .max_flat_workgroup_size: 256
    .name:           _ZN2at6native12_GLOBAL__N_121max_pool_forward_nhwcIfiEEvPKT_iT0_S6_S6_S6_S6_iiiiiiiiS6_S6_S6_S6_iiPS3_Pl
    .private_segment_fixed_size: 0
    .sgpr_count:     70
    .sgpr_spill_count: 0
    .symbol:         _ZN2at6native12_GLOBAL__N_121max_pool_forward_nhwcIfiEEvPKT_iT0_S6_S6_S6_S6_iiiiiiiiS6_S6_S6_S6_iiPS3_Pl.kd
    .uniform_work_group_size: 1
    .uses_dynamic_stack: false
    .vgpr_count:     50
    .vgpr_spill_count: 0
    .wavefront_size: 64
  - .agpr_count:     0
    .args:
      - .address_space:  global
        .offset:         0
        .size:           8
        .value_kind:     global_buffer
      - .offset:         8
        .size:           4
        .value_kind:     by_value
      - .offset:         16
        .size:           8
        .value_kind:     by_value
      - .offset:         24
        .size:           8
        .value_kind:     by_value
      - .offset:         32
        .size:           8
        .value_kind:     by_value
      - .offset:         40
        .size:           8
        .value_kind:     by_value
      - .offset:         48
        .size:           8
        .value_kind:     by_value
      - .offset:         56
        .size:           4
        .value_kind:     by_value
      - .offset:         60
        .size:           4
        .value_kind:     by_value
      - .offset:         64
        .size:           4
        .value_kind:     by_value
      - .offset:         68
        .size:           4
        .value_kind:     by_value
      - .offset:         72
        .size:           4
        .value_kind:     by_value
      - .offset:         76
        .size:           4
        .value_kind:     by_value
      - .offset:         80
        .size:           4
        .value_kind:     by_value
      - .offset:         84
        .size:           4
        .value_kind:     by_value
      - .offset:         88
        .size:           8
        .value_kind:     by_value
      - .offset:         96
        .size:           8
        .value_kind:     by_value
      - .offset:         104
        .size:           8
        .value_kind:     by_value
      - .offset:         112
        .size:           8
        .value_kind:     by_value
      - .offset:         120
        .size:           4
        .value_kind:     by_value
      - .offset:         124
        .size:           4
        .value_kind:     by_value
      - .address_space:  global
        .offset:         128
        .size:           8
        .value_kind:     global_buffer
      - .address_space:  global
        .offset:         136
        .size:           8
        .value_kind:     global_buffer
      - .offset:         144
        .size:           4
        .value_kind:     hidden_block_count_x
      - .offset:         148
        .size:           4
        .value_kind:     hidden_block_count_y
      - .offset:         152
        .size:           4
        .value_kind:     hidden_block_count_z
      - .offset:         156
        .size:           2
        .value_kind:     hidden_group_size_x
      - .offset:         158
        .size:           2
        .value_kind:     hidden_group_size_y
      - .offset:         160
        .size:           2
        .value_kind:     hidden_group_size_z
      - .offset:         162
        .size:           2
        .value_kind:     hidden_remainder_x
      - .offset:         164
        .size:           2
        .value_kind:     hidden_remainder_y
      - .offset:         166
        .size:           2
        .value_kind:     hidden_remainder_z
      - .offset:         184
        .size:           8
        .value_kind:     hidden_global_offset_x
      - .offset:         192
        .size:           8
        .value_kind:     hidden_global_offset_y
      - .offset:         200
        .size:           8
        .value_kind:     hidden_global_offset_z
      - .offset:         208
        .size:           2
        .value_kind:     hidden_grid_dims
      - .offset:         264
        .size:           4
        .value_kind:     hidden_dynamic_lds_size
    .group_segment_fixed_size: 0
    .kernarg_segment_align: 8
    .kernarg_segment_size: 400
    .language:       OpenCL C
    .language_version:
      - 2
      - 0
    .max_flat_workgroup_size: 256
    .name:           _ZN2at6native12_GLOBAL__N_121max_pool_forward_nhwcIflEEvPKT_iT0_S6_S6_S6_S6_iiiiiiiiS6_S6_S6_S6_iiPS3_Pl
    .private_segment_fixed_size: 0
    .sgpr_count:     87
    .sgpr_spill_count: 0
    .symbol:         _ZN2at6native12_GLOBAL__N_121max_pool_forward_nhwcIflEEvPKT_iT0_S6_S6_S6_S6_iiiiiiiiS6_S6_S6_S6_iiPS3_Pl.kd
    .uniform_work_group_size: 1
    .uses_dynamic_stack: false
    .vgpr_count:     64
    .vgpr_spill_count: 0
    .wavefront_size: 64
  - .agpr_count:     0
    .args:
      - .offset:         0
        .size:           4
        .value_kind:     by_value
      - .address_space:  global
        .offset:         8
        .size:           8
        .value_kind:     global_buffer
      - .offset:         16
        .size:           8
        .value_kind:     by_value
      - .offset:         24
        .size:           8
        .value_kind:     by_value
      - .offset:         32
        .size:           8
        .value_kind:     by_value
      - .offset:         40
        .size:           4
        .value_kind:     by_value
      - .offset:         44
        .size:           4
        .value_kind:     by_value
      - .offset:         48
        .size:           4
        .value_kind:     by_value
      - .offset:         52
        .size:           4
        .value_kind:     by_value
      - .offset:         56
        .size:           4
        .value_kind:     by_value
      - .offset:         60
        .size:           4
        .value_kind:     by_value
      - .offset:         64
        .size:           4
        .value_kind:     by_value
      - .offset:         68
        .size:           4
        .value_kind:     by_value
      - .offset:         72
        .size:           4
        .value_kind:     by_value
      - .offset:         76
        .size:           4
        .value_kind:     by_value
      - .address_space:  global
        .offset:         80
        .size:           8
        .value_kind:     global_buffer
      - .address_space:  global
        .offset:         88
        .size:           8
        .value_kind:     global_buffer
      - .offset:         96
        .size:           4
        .value_kind:     hidden_block_count_x
      - .offset:         100
        .size:           4
        .value_kind:     hidden_block_count_y
      - .offset:         104
        .size:           4
        .value_kind:     hidden_block_count_z
      - .offset:         108
        .size:           2
        .value_kind:     hidden_group_size_x
      - .offset:         110
        .size:           2
        .value_kind:     hidden_group_size_y
      - .offset:         112
        .size:           2
        .value_kind:     hidden_group_size_z
      - .offset:         114
        .size:           2
        .value_kind:     hidden_remainder_x
      - .offset:         116
        .size:           2
        .value_kind:     hidden_remainder_y
      - .offset:         118
        .size:           2
        .value_kind:     hidden_remainder_z
      - .offset:         136
        .size:           8
        .value_kind:     hidden_global_offset_x
      - .offset:         144
        .size:           8
        .value_kind:     hidden_global_offset_y
      - .offset:         152
        .size:           8
        .value_kind:     hidden_global_offset_z
      - .offset:         160
        .size:           2
        .value_kind:     hidden_grid_dims
    .group_segment_fixed_size: 0
    .kernarg_segment_align: 8
    .kernarg_segment_size: 352
    .language:       OpenCL C
    .language_version:
      - 2
      - 0
    .max_flat_workgroup_size: 1024
    .name:           _ZN2at6native12_GLOBAL__N_121max_pool_forward_nchwIfiEEvT0_PKT_llliiiiiiiiiiPS4_Pl
    .private_segment_fixed_size: 0
    .sgpr_count:     61
    .sgpr_spill_count: 0
    .symbol:         _ZN2at6native12_GLOBAL__N_121max_pool_forward_nchwIfiEEvT0_PKT_llliiiiiiiiiiPS4_Pl.kd
    .uniform_work_group_size: 1
    .uses_dynamic_stack: false
    .vgpr_count:     20
    .vgpr_spill_count: 0
    .wavefront_size: 64
  - .agpr_count:     0
    .args:
      - .offset:         0
        .size:           8
        .value_kind:     by_value
      - .address_space:  global
        .offset:         8
        .size:           8
        .value_kind:     global_buffer
      - .offset:         16
        .size:           8
        .value_kind:     by_value
      - .offset:         24
        .size:           8
        .value_kind:     by_value
      - .offset:         32
        .size:           8
        .value_kind:     by_value
      - .offset:         40
        .size:           4
        .value_kind:     by_value
      - .offset:         44
        .size:           4
        .value_kind:     by_value
      - .offset:         48
        .size:           4
        .value_kind:     by_value
      - .offset:         52
        .size:           4
        .value_kind:     by_value
      - .offset:         56
        .size:           4
        .value_kind:     by_value
      - .offset:         60
        .size:           4
        .value_kind:     by_value
      - .offset:         64
        .size:           4
        .value_kind:     by_value
      - .offset:         68
        .size:           4
        .value_kind:     by_value
      - .offset:         72
        .size:           4
        .value_kind:     by_value
      - .offset:         76
        .size:           4
        .value_kind:     by_value
      - .address_space:  global
        .offset:         80
        .size:           8
        .value_kind:     global_buffer
      - .address_space:  global
        .offset:         88
        .size:           8
        .value_kind:     global_buffer
      - .offset:         96
        .size:           4
        .value_kind:     hidden_block_count_x
      - .offset:         100
        .size:           4
        .value_kind:     hidden_block_count_y
      - .offset:         104
        .size:           4
        .value_kind:     hidden_block_count_z
      - .offset:         108
        .size:           2
        .value_kind:     hidden_group_size_x
      - .offset:         110
        .size:           2
        .value_kind:     hidden_group_size_y
      - .offset:         112
        .size:           2
        .value_kind:     hidden_group_size_z
      - .offset:         114
        .size:           2
        .value_kind:     hidden_remainder_x
      - .offset:         116
        .size:           2
        .value_kind:     hidden_remainder_y
      - .offset:         118
        .size:           2
        .value_kind:     hidden_remainder_z
      - .offset:         136
        .size:           8
        .value_kind:     hidden_global_offset_x
      - .offset:         144
        .size:           8
        .value_kind:     hidden_global_offset_y
      - .offset:         152
        .size:           8
        .value_kind:     hidden_global_offset_z
      - .offset:         160
        .size:           2
        .value_kind:     hidden_grid_dims
    .group_segment_fixed_size: 0
    .kernarg_segment_align: 8
    .kernarg_segment_size: 352
    .language:       OpenCL C
    .language_version:
      - 2
      - 0
    .max_flat_workgroup_size: 1024
    .name:           _ZN2at6native12_GLOBAL__N_121max_pool_forward_nchwIflEEvT0_PKT_llliiiiiiiiiiPS4_Pl
    .private_segment_fixed_size: 0
    .sgpr_count:     65
    .sgpr_spill_count: 0
    .symbol:         _ZN2at6native12_GLOBAL__N_121max_pool_forward_nchwIflEEvT0_PKT_llliiiiiiiiiiPS4_Pl.kd
    .uniform_work_group_size: 1
    .uses_dynamic_stack: false
    .vgpr_count:     26
    .vgpr_spill_count: 0
    .wavefront_size: 64
  - .agpr_count:     0
    .args:
      - .address_space:  global
        .offset:         0
        .size:           8
        .value_kind:     global_buffer
      - .offset:         8
        .size:           4
        .value_kind:     by_value
      - .offset:         12
        .size:           4
        .value_kind:     by_value
      - .offset:         16
        .size:           4
        .value_kind:     by_value
      - .offset:         20
        .size:           4
        .value_kind:     by_value
      - .offset:         24
        .size:           4
        .value_kind:     by_value
      - .offset:         28
        .size:           4
        .value_kind:     by_value
      - .offset:         32
        .size:           4
        .value_kind:     by_value
      - .offset:         36
        .size:           4
        .value_kind:     by_value
      - .offset:         40
        .size:           4
        .value_kind:     by_value
      - .offset:         44
        .size:           4
        .value_kind:     by_value
      - .offset:         48
        .size:           4
        .value_kind:     by_value
      - .offset:         52
        .size:           4
        .value_kind:     by_value
      - .offset:         56
        .size:           4
        .value_kind:     by_value
      - .offset:         60
        .size:           4
        .value_kind:     by_value
      - .offset:         64
        .size:           4
        .value_kind:     by_value
      - .offset:         68
        .size:           4
        .value_kind:     by_value
      - .offset:         72
        .size:           4
        .value_kind:     by_value
      - .offset:         76
        .size:           4
        .value_kind:     by_value
      - .offset:         80
        .size:           4
        .value_kind:     by_value
      - .offset:         84
        .size:           4
        .value_kind:     by_value
      - .address_space:  global
        .offset:         88
        .size:           8
        .value_kind:     global_buffer
      - .address_space:  global
        .offset:         96
        .size:           8
        .value_kind:     global_buffer
      - .offset:         104
        .size:           4
        .value_kind:     hidden_block_count_x
      - .offset:         108
        .size:           4
        .value_kind:     hidden_block_count_y
      - .offset:         112
        .size:           4
        .value_kind:     hidden_block_count_z
      - .offset:         116
        .size:           2
        .value_kind:     hidden_group_size_x
      - .offset:         118
        .size:           2
        .value_kind:     hidden_group_size_y
      - .offset:         120
        .size:           2
        .value_kind:     hidden_group_size_z
      - .offset:         122
        .size:           2
        .value_kind:     hidden_remainder_x
      - .offset:         124
        .size:           2
        .value_kind:     hidden_remainder_y
      - .offset:         126
        .size:           2
        .value_kind:     hidden_remainder_z
      - .offset:         144
        .size:           8
        .value_kind:     hidden_global_offset_x
      - .offset:         152
        .size:           8
        .value_kind:     hidden_global_offset_y
      - .offset:         160
        .size:           8
        .value_kind:     hidden_global_offset_z
      - .offset:         168
        .size:           2
        .value_kind:     hidden_grid_dims
      - .offset:         224
        .size:           4
        .value_kind:     hidden_dynamic_lds_size
    .group_segment_fixed_size: 0
    .kernarg_segment_align: 8
    .kernarg_segment_size: 360
    .language:       OpenCL C
    .language_version:
      - 2
      - 0
    .max_flat_workgroup_size: 256
    .name:           _ZN2at6native12_GLOBAL__N_121max_pool_forward_nhwcIN3c104HalfEiEEvPKT_iT0_S8_S8_S8_S8_iiiiiiiiS8_S8_S8_S8_iiPS5_Pl
    .private_segment_fixed_size: 0
    .sgpr_count:     71
    .sgpr_spill_count: 0
    .symbol:         _ZN2at6native12_GLOBAL__N_121max_pool_forward_nhwcIN3c104HalfEiEEvPKT_iT0_S8_S8_S8_S8_iiiiiiiiS8_S8_S8_S8_iiPS5_Pl.kd
    .uniform_work_group_size: 1
    .uses_dynamic_stack: false
    .vgpr_count:     48
    .vgpr_spill_count: 0
    .wavefront_size: 64
  - .agpr_count:     0
    .args:
      - .address_space:  global
        .offset:         0
        .size:           8
        .value_kind:     global_buffer
      - .offset:         8
        .size:           4
        .value_kind:     by_value
      - .offset:         16
        .size:           8
        .value_kind:     by_value
      - .offset:         24
        .size:           8
        .value_kind:     by_value
      - .offset:         32
        .size:           8
        .value_kind:     by_value
      - .offset:         40
        .size:           8
        .value_kind:     by_value
      - .offset:         48
        .size:           8
        .value_kind:     by_value
      - .offset:         56
        .size:           4
        .value_kind:     by_value
      - .offset:         60
        .size:           4
        .value_kind:     by_value
      - .offset:         64
        .size:           4
        .value_kind:     by_value
      - .offset:         68
        .size:           4
        .value_kind:     by_value
      - .offset:         72
        .size:           4
        .value_kind:     by_value
      - .offset:         76
        .size:           4
        .value_kind:     by_value
      - .offset:         80
        .size:           4
        .value_kind:     by_value
      - .offset:         84
        .size:           4
        .value_kind:     by_value
      - .offset:         88
        .size:           8
        .value_kind:     by_value
      - .offset:         96
        .size:           8
        .value_kind:     by_value
      - .offset:         104
        .size:           8
        .value_kind:     by_value
      - .offset:         112
        .size:           8
        .value_kind:     by_value
      - .offset:         120
        .size:           4
        .value_kind:     by_value
      - .offset:         124
        .size:           4
        .value_kind:     by_value
      - .address_space:  global
        .offset:         128
        .size:           8
        .value_kind:     global_buffer
      - .address_space:  global
        .offset:         136
        .size:           8
        .value_kind:     global_buffer
      - .offset:         144
        .size:           4
        .value_kind:     hidden_block_count_x
      - .offset:         148
        .size:           4
        .value_kind:     hidden_block_count_y
      - .offset:         152
        .size:           4
        .value_kind:     hidden_block_count_z
      - .offset:         156
        .size:           2
        .value_kind:     hidden_group_size_x
      - .offset:         158
        .size:           2
        .value_kind:     hidden_group_size_y
      - .offset:         160
        .size:           2
        .value_kind:     hidden_group_size_z
      - .offset:         162
        .size:           2
        .value_kind:     hidden_remainder_x
      - .offset:         164
        .size:           2
        .value_kind:     hidden_remainder_y
      - .offset:         166
        .size:           2
        .value_kind:     hidden_remainder_z
      - .offset:         184
        .size:           8
        .value_kind:     hidden_global_offset_x
      - .offset:         192
        .size:           8
        .value_kind:     hidden_global_offset_y
      - .offset:         200
        .size:           8
        .value_kind:     hidden_global_offset_z
      - .offset:         208
        .size:           2
        .value_kind:     hidden_grid_dims
      - .offset:         264
        .size:           4
        .value_kind:     hidden_dynamic_lds_size
    .group_segment_fixed_size: 0
    .kernarg_segment_align: 8
    .kernarg_segment_size: 400
    .language:       OpenCL C
    .language_version:
      - 2
      - 0
    .max_flat_workgroup_size: 256
    .name:           _ZN2at6native12_GLOBAL__N_121max_pool_forward_nhwcIN3c104HalfElEEvPKT_iT0_S8_S8_S8_S8_iiiiiiiiS8_S8_S8_S8_iiPS5_Pl
    .private_segment_fixed_size: 0
    .sgpr_count:     87
    .sgpr_spill_count: 0
    .symbol:         _ZN2at6native12_GLOBAL__N_121max_pool_forward_nhwcIN3c104HalfElEEvPKT_iT0_S8_S8_S8_S8_iiiiiiiiS8_S8_S8_S8_iiPS5_Pl.kd
    .uniform_work_group_size: 1
    .uses_dynamic_stack: false
    .vgpr_count:     64
    .vgpr_spill_count: 0
    .wavefront_size: 64
  - .agpr_count:     0
    .args:
      - .offset:         0
        .size:           4
        .value_kind:     by_value
      - .address_space:  global
        .offset:         8
        .size:           8
        .value_kind:     global_buffer
      - .offset:         16
        .size:           8
        .value_kind:     by_value
      - .offset:         24
        .size:           8
        .value_kind:     by_value
      - .offset:         32
        .size:           8
        .value_kind:     by_value
      - .offset:         40
        .size:           4
        .value_kind:     by_value
      - .offset:         44
        .size:           4
        .value_kind:     by_value
      - .offset:         48
        .size:           4
        .value_kind:     by_value
      - .offset:         52
        .size:           4
        .value_kind:     by_value
      - .offset:         56
        .size:           4
        .value_kind:     by_value
      - .offset:         60
        .size:           4
        .value_kind:     by_value
      - .offset:         64
        .size:           4
        .value_kind:     by_value
      - .offset:         68
        .size:           4
        .value_kind:     by_value
      - .offset:         72
        .size:           4
        .value_kind:     by_value
      - .offset:         76
        .size:           4
        .value_kind:     by_value
      - .address_space:  global
        .offset:         80
        .size:           8
        .value_kind:     global_buffer
      - .address_space:  global
        .offset:         88
        .size:           8
        .value_kind:     global_buffer
      - .offset:         96
        .size:           4
        .value_kind:     hidden_block_count_x
      - .offset:         100
        .size:           4
        .value_kind:     hidden_block_count_y
      - .offset:         104
        .size:           4
        .value_kind:     hidden_block_count_z
      - .offset:         108
        .size:           2
        .value_kind:     hidden_group_size_x
      - .offset:         110
        .size:           2
        .value_kind:     hidden_group_size_y
      - .offset:         112
        .size:           2
        .value_kind:     hidden_group_size_z
      - .offset:         114
        .size:           2
        .value_kind:     hidden_remainder_x
      - .offset:         116
        .size:           2
        .value_kind:     hidden_remainder_y
      - .offset:         118
        .size:           2
        .value_kind:     hidden_remainder_z
      - .offset:         136
        .size:           8
        .value_kind:     hidden_global_offset_x
      - .offset:         144
        .size:           8
        .value_kind:     hidden_global_offset_y
      - .offset:         152
        .size:           8
        .value_kind:     hidden_global_offset_z
      - .offset:         160
        .size:           2
        .value_kind:     hidden_grid_dims
    .group_segment_fixed_size: 0
    .kernarg_segment_align: 8
    .kernarg_segment_size: 352
    .language:       OpenCL C
    .language_version:
      - 2
      - 0
    .max_flat_workgroup_size: 1024
    .name:           _ZN2at6native12_GLOBAL__N_121max_pool_forward_nchwIN3c104HalfEiEEvT0_PKT_llliiiiiiiiiiPS6_Pl
    .private_segment_fixed_size: 0
    .sgpr_count:     61
    .sgpr_spill_count: 0
    .symbol:         _ZN2at6native12_GLOBAL__N_121max_pool_forward_nchwIN3c104HalfEiEEvT0_PKT_llliiiiiiiiiiPS6_Pl.kd
    .uniform_work_group_size: 1
    .uses_dynamic_stack: false
    .vgpr_count:     20
    .vgpr_spill_count: 0
    .wavefront_size: 64
  - .agpr_count:     0
    .args:
      - .offset:         0
        .size:           8
        .value_kind:     by_value
      - .address_space:  global
        .offset:         8
        .size:           8
        .value_kind:     global_buffer
      - .offset:         16
        .size:           8
        .value_kind:     by_value
      - .offset:         24
        .size:           8
        .value_kind:     by_value
      - .offset:         32
        .size:           8
        .value_kind:     by_value
      - .offset:         40
        .size:           4
        .value_kind:     by_value
      - .offset:         44
        .size:           4
        .value_kind:     by_value
      - .offset:         48
        .size:           4
        .value_kind:     by_value
      - .offset:         52
        .size:           4
        .value_kind:     by_value
      - .offset:         56
        .size:           4
        .value_kind:     by_value
      - .offset:         60
        .size:           4
        .value_kind:     by_value
      - .offset:         64
        .size:           4
        .value_kind:     by_value
      - .offset:         68
        .size:           4
        .value_kind:     by_value
      - .offset:         72
        .size:           4
        .value_kind:     by_value
      - .offset:         76
        .size:           4
        .value_kind:     by_value
      - .address_space:  global
        .offset:         80
        .size:           8
        .value_kind:     global_buffer
      - .address_space:  global
        .offset:         88
        .size:           8
        .value_kind:     global_buffer
      - .offset:         96
        .size:           4
        .value_kind:     hidden_block_count_x
      - .offset:         100
        .size:           4
        .value_kind:     hidden_block_count_y
      - .offset:         104
        .size:           4
        .value_kind:     hidden_block_count_z
      - .offset:         108
        .size:           2
        .value_kind:     hidden_group_size_x
      - .offset:         110
        .size:           2
        .value_kind:     hidden_group_size_y
      - .offset:         112
        .size:           2
        .value_kind:     hidden_group_size_z
      - .offset:         114
        .size:           2
        .value_kind:     hidden_remainder_x
      - .offset:         116
        .size:           2
        .value_kind:     hidden_remainder_y
      - .offset:         118
        .size:           2
        .value_kind:     hidden_remainder_z
      - .offset:         136
        .size:           8
        .value_kind:     hidden_global_offset_x
      - .offset:         144
        .size:           8
        .value_kind:     hidden_global_offset_y
      - .offset:         152
        .size:           8
        .value_kind:     hidden_global_offset_z
      - .offset:         160
        .size:           2
        .value_kind:     hidden_grid_dims
    .group_segment_fixed_size: 0
    .kernarg_segment_align: 8
    .kernarg_segment_size: 352
    .language:       OpenCL C
    .language_version:
      - 2
      - 0
    .max_flat_workgroup_size: 1024
    .name:           _ZN2at6native12_GLOBAL__N_121max_pool_forward_nchwIN3c104HalfElEEvT0_PKT_llliiiiiiiiiiPS6_Pl
    .private_segment_fixed_size: 0
    .sgpr_count:     65
    .sgpr_spill_count: 0
    .symbol:         _ZN2at6native12_GLOBAL__N_121max_pool_forward_nchwIN3c104HalfElEEvT0_PKT_llliiiiiiiiiiPS6_Pl.kd
    .uniform_work_group_size: 1
    .uses_dynamic_stack: false
    .vgpr_count:     26
    .vgpr_spill_count: 0
    .wavefront_size: 64
  - .agpr_count:     0
    .args:
      - .address_space:  global
        .offset:         0
        .size:           8
        .value_kind:     global_buffer
      - .offset:         8
        .size:           4
        .value_kind:     by_value
      - .offset:         12
        .size:           4
        .value_kind:     by_value
      - .offset:         16
        .size:           4
        .value_kind:     by_value
      - .offset:         20
        .size:           4
        .value_kind:     by_value
      - .offset:         24
        .size:           4
        .value_kind:     by_value
      - .offset:         28
        .size:           4
        .value_kind:     by_value
      - .offset:         32
        .size:           4
        .value_kind:     by_value
      - .offset:         36
        .size:           4
        .value_kind:     by_value
      - .offset:         40
        .size:           4
        .value_kind:     by_value
      - .offset:         44
        .size:           4
        .value_kind:     by_value
      - .offset:         48
        .size:           4
        .value_kind:     by_value
      - .offset:         52
        .size:           4
        .value_kind:     by_value
      - .offset:         56
        .size:           4
        .value_kind:     by_value
      - .offset:         60
        .size:           4
        .value_kind:     by_value
      - .offset:         64
        .size:           4
        .value_kind:     by_value
      - .offset:         68
        .size:           4
        .value_kind:     by_value
      - .offset:         72
        .size:           4
        .value_kind:     by_value
      - .offset:         76
        .size:           4
        .value_kind:     by_value
      - .offset:         80
        .size:           4
        .value_kind:     by_value
      - .offset:         84
        .size:           4
        .value_kind:     by_value
      - .address_space:  global
        .offset:         88
        .size:           8
        .value_kind:     global_buffer
      - .address_space:  global
        .offset:         96
        .size:           8
        .value_kind:     global_buffer
      - .offset:         104
        .size:           4
        .value_kind:     hidden_block_count_x
      - .offset:         108
        .size:           4
        .value_kind:     hidden_block_count_y
      - .offset:         112
        .size:           4
        .value_kind:     hidden_block_count_z
      - .offset:         116
        .size:           2
        .value_kind:     hidden_group_size_x
      - .offset:         118
        .size:           2
        .value_kind:     hidden_group_size_y
      - .offset:         120
        .size:           2
        .value_kind:     hidden_group_size_z
      - .offset:         122
        .size:           2
        .value_kind:     hidden_remainder_x
      - .offset:         124
        .size:           2
        .value_kind:     hidden_remainder_y
      - .offset:         126
        .size:           2
        .value_kind:     hidden_remainder_z
      - .offset:         144
        .size:           8
        .value_kind:     hidden_global_offset_x
      - .offset:         152
        .size:           8
        .value_kind:     hidden_global_offset_y
      - .offset:         160
        .size:           8
        .value_kind:     hidden_global_offset_z
      - .offset:         168
        .size:           2
        .value_kind:     hidden_grid_dims
      - .offset:         224
        .size:           4
        .value_kind:     hidden_dynamic_lds_size
    .group_segment_fixed_size: 0
    .kernarg_segment_align: 8
    .kernarg_segment_size: 360
    .language:       OpenCL C
    .language_version:
      - 2
      - 0
    .max_flat_workgroup_size: 256
    .name:           _ZN2at6native12_GLOBAL__N_121max_pool_forward_nhwcIN3c108BFloat16EiEEvPKT_iT0_S8_S8_S8_S8_iiiiiiiiS8_S8_S8_S8_iiPS5_Pl
    .private_segment_fixed_size: 0
    .sgpr_count:     71
    .sgpr_spill_count: 0
    .symbol:         _ZN2at6native12_GLOBAL__N_121max_pool_forward_nhwcIN3c108BFloat16EiEEvPKT_iT0_S8_S8_S8_S8_iiiiiiiiS8_S8_S8_S8_iiPS5_Pl.kd
    .uniform_work_group_size: 1
    .uses_dynamic_stack: false
    .vgpr_count:     46
    .vgpr_spill_count: 0
    .wavefront_size: 64
  - .agpr_count:     0
    .args:
      - .address_space:  global
        .offset:         0
        .size:           8
        .value_kind:     global_buffer
      - .offset:         8
        .size:           4
        .value_kind:     by_value
      - .offset:         16
        .size:           8
        .value_kind:     by_value
      - .offset:         24
        .size:           8
        .value_kind:     by_value
      - .offset:         32
        .size:           8
        .value_kind:     by_value
      - .offset:         40
        .size:           8
        .value_kind:     by_value
      - .offset:         48
        .size:           8
        .value_kind:     by_value
      - .offset:         56
        .size:           4
        .value_kind:     by_value
      - .offset:         60
        .size:           4
        .value_kind:     by_value
      - .offset:         64
        .size:           4
        .value_kind:     by_value
      - .offset:         68
        .size:           4
        .value_kind:     by_value
      - .offset:         72
        .size:           4
        .value_kind:     by_value
      - .offset:         76
        .size:           4
        .value_kind:     by_value
      - .offset:         80
        .size:           4
        .value_kind:     by_value
      - .offset:         84
        .size:           4
        .value_kind:     by_value
      - .offset:         88
        .size:           8
        .value_kind:     by_value
      - .offset:         96
        .size:           8
        .value_kind:     by_value
      - .offset:         104
        .size:           8
        .value_kind:     by_value
      - .offset:         112
        .size:           8
        .value_kind:     by_value
      - .offset:         120
        .size:           4
        .value_kind:     by_value
      - .offset:         124
        .size:           4
        .value_kind:     by_value
      - .address_space:  global
        .offset:         128
        .size:           8
        .value_kind:     global_buffer
      - .address_space:  global
        .offset:         136
        .size:           8
        .value_kind:     global_buffer
      - .offset:         144
        .size:           4
        .value_kind:     hidden_block_count_x
      - .offset:         148
        .size:           4
        .value_kind:     hidden_block_count_y
      - .offset:         152
        .size:           4
        .value_kind:     hidden_block_count_z
      - .offset:         156
        .size:           2
        .value_kind:     hidden_group_size_x
      - .offset:         158
        .size:           2
        .value_kind:     hidden_group_size_y
      - .offset:         160
        .size:           2
        .value_kind:     hidden_group_size_z
      - .offset:         162
        .size:           2
        .value_kind:     hidden_remainder_x
      - .offset:         164
        .size:           2
        .value_kind:     hidden_remainder_y
      - .offset:         166
        .size:           2
        .value_kind:     hidden_remainder_z
      - .offset:         184
        .size:           8
        .value_kind:     hidden_global_offset_x
      - .offset:         192
        .size:           8
        .value_kind:     hidden_global_offset_y
      - .offset:         200
        .size:           8
        .value_kind:     hidden_global_offset_z
      - .offset:         208
        .size:           2
        .value_kind:     hidden_grid_dims
      - .offset:         264
        .size:           4
        .value_kind:     hidden_dynamic_lds_size
    .group_segment_fixed_size: 0
    .kernarg_segment_align: 8
    .kernarg_segment_size: 400
    .language:       OpenCL C
    .language_version:
      - 2
      - 0
    .max_flat_workgroup_size: 256
    .name:           _ZN2at6native12_GLOBAL__N_121max_pool_forward_nhwcIN3c108BFloat16ElEEvPKT_iT0_S8_S8_S8_S8_iiiiiiiiS8_S8_S8_S8_iiPS5_Pl
    .private_segment_fixed_size: 0
    .sgpr_count:     87
    .sgpr_spill_count: 0
    .symbol:         _ZN2at6native12_GLOBAL__N_121max_pool_forward_nhwcIN3c108BFloat16ElEEvPKT_iT0_S8_S8_S8_S8_iiiiiiiiS8_S8_S8_S8_iiPS5_Pl.kd
    .uniform_work_group_size: 1
    .uses_dynamic_stack: false
    .vgpr_count:     64
    .vgpr_spill_count: 0
    .wavefront_size: 64
  - .agpr_count:     0
    .args:
      - .offset:         0
        .size:           4
        .value_kind:     by_value
      - .address_space:  global
        .offset:         8
        .size:           8
        .value_kind:     global_buffer
      - .offset:         16
        .size:           8
        .value_kind:     by_value
      - .offset:         24
        .size:           8
        .value_kind:     by_value
      - .offset:         32
        .size:           8
        .value_kind:     by_value
      - .offset:         40
        .size:           4
        .value_kind:     by_value
      - .offset:         44
        .size:           4
        .value_kind:     by_value
      - .offset:         48
        .size:           4
        .value_kind:     by_value
      - .offset:         52
        .size:           4
        .value_kind:     by_value
      - .offset:         56
        .size:           4
        .value_kind:     by_value
      - .offset:         60
        .size:           4
        .value_kind:     by_value
      - .offset:         64
        .size:           4
        .value_kind:     by_value
      - .offset:         68
        .size:           4
        .value_kind:     by_value
      - .offset:         72
        .size:           4
        .value_kind:     by_value
      - .offset:         76
        .size:           4
        .value_kind:     by_value
      - .address_space:  global
        .offset:         80
        .size:           8
        .value_kind:     global_buffer
      - .address_space:  global
        .offset:         88
        .size:           8
        .value_kind:     global_buffer
      - .offset:         96
        .size:           4
        .value_kind:     hidden_block_count_x
      - .offset:         100
        .size:           4
        .value_kind:     hidden_block_count_y
      - .offset:         104
        .size:           4
        .value_kind:     hidden_block_count_z
      - .offset:         108
        .size:           2
        .value_kind:     hidden_group_size_x
      - .offset:         110
        .size:           2
        .value_kind:     hidden_group_size_y
      - .offset:         112
        .size:           2
        .value_kind:     hidden_group_size_z
      - .offset:         114
        .size:           2
        .value_kind:     hidden_remainder_x
      - .offset:         116
        .size:           2
        .value_kind:     hidden_remainder_y
      - .offset:         118
        .size:           2
        .value_kind:     hidden_remainder_z
      - .offset:         136
        .size:           8
        .value_kind:     hidden_global_offset_x
      - .offset:         144
        .size:           8
        .value_kind:     hidden_global_offset_y
      - .offset:         152
        .size:           8
        .value_kind:     hidden_global_offset_z
      - .offset:         160
        .size:           2
        .value_kind:     hidden_grid_dims
    .group_segment_fixed_size: 0
    .kernarg_segment_align: 8
    .kernarg_segment_size: 352
    .language:       OpenCL C
    .language_version:
      - 2
      - 0
    .max_flat_workgroup_size: 1024
    .name:           _ZN2at6native12_GLOBAL__N_121max_pool_forward_nchwIN3c108BFloat16EiEEvT0_PKT_llliiiiiiiiiiPS6_Pl
    .private_segment_fixed_size: 0
    .sgpr_count:     61
    .sgpr_spill_count: 0
    .symbol:         _ZN2at6native12_GLOBAL__N_121max_pool_forward_nchwIN3c108BFloat16EiEEvT0_PKT_llliiiiiiiiiiPS6_Pl.kd
    .uniform_work_group_size: 1
    .uses_dynamic_stack: false
    .vgpr_count:     22
    .vgpr_spill_count: 0
    .wavefront_size: 64
  - .agpr_count:     0
    .args:
      - .offset:         0
        .size:           8
        .value_kind:     by_value
      - .address_space:  global
        .offset:         8
        .size:           8
        .value_kind:     global_buffer
      - .offset:         16
        .size:           8
        .value_kind:     by_value
      - .offset:         24
        .size:           8
        .value_kind:     by_value
      - .offset:         32
        .size:           8
        .value_kind:     by_value
      - .offset:         40
        .size:           4
        .value_kind:     by_value
      - .offset:         44
        .size:           4
        .value_kind:     by_value
      - .offset:         48
        .size:           4
        .value_kind:     by_value
      - .offset:         52
        .size:           4
        .value_kind:     by_value
      - .offset:         56
        .size:           4
        .value_kind:     by_value
      - .offset:         60
        .size:           4
        .value_kind:     by_value
      - .offset:         64
        .size:           4
        .value_kind:     by_value
      - .offset:         68
        .size:           4
        .value_kind:     by_value
      - .offset:         72
        .size:           4
        .value_kind:     by_value
      - .offset:         76
        .size:           4
        .value_kind:     by_value
      - .address_space:  global
        .offset:         80
        .size:           8
        .value_kind:     global_buffer
      - .address_space:  global
        .offset:         88
        .size:           8
        .value_kind:     global_buffer
      - .offset:         96
        .size:           4
        .value_kind:     hidden_block_count_x
      - .offset:         100
        .size:           4
        .value_kind:     hidden_block_count_y
      - .offset:         104
        .size:           4
        .value_kind:     hidden_block_count_z
      - .offset:         108
        .size:           2
        .value_kind:     hidden_group_size_x
      - .offset:         110
        .size:           2
        .value_kind:     hidden_group_size_y
      - .offset:         112
        .size:           2
        .value_kind:     hidden_group_size_z
      - .offset:         114
        .size:           2
        .value_kind:     hidden_remainder_x
      - .offset:         116
        .size:           2
        .value_kind:     hidden_remainder_y
      - .offset:         118
        .size:           2
        .value_kind:     hidden_remainder_z
      - .offset:         136
        .size:           8
        .value_kind:     hidden_global_offset_x
      - .offset:         144
        .size:           8
        .value_kind:     hidden_global_offset_y
      - .offset:         152
        .size:           8
        .value_kind:     hidden_global_offset_z
      - .offset:         160
        .size:           2
        .value_kind:     hidden_grid_dims
    .group_segment_fixed_size: 0
    .kernarg_segment_align: 8
    .kernarg_segment_size: 352
    .language:       OpenCL C
    .language_version:
      - 2
      - 0
    .max_flat_workgroup_size: 1024
    .name:           _ZN2at6native12_GLOBAL__N_121max_pool_forward_nchwIN3c108BFloat16ElEEvT0_PKT_llliiiiiiiiiiPS6_Pl
    .private_segment_fixed_size: 0
    .sgpr_count:     65
    .sgpr_spill_count: 0
    .symbol:         _ZN2at6native12_GLOBAL__N_121max_pool_forward_nchwIN3c108BFloat16ElEEvT0_PKT_llliiiiiiiiiiPS6_Pl.kd
    .uniform_work_group_size: 1
    .uses_dynamic_stack: false
    .vgpr_count:     26
    .vgpr_spill_count: 0
    .wavefront_size: 64
  - .agpr_count:     0
    .args:
      - .address_space:  global
        .offset:         0
        .size:           8
        .value_kind:     global_buffer
      - .address_space:  global
        .offset:         8
        .size:           8
        .value_kind:     global_buffer
      - .offset:         16
        .size:           4
        .value_kind:     by_value
      - .offset:         24
        .size:           8
        .value_kind:     by_value
      - .offset:         32
        .size:           8
        .value_kind:     by_value
      - .offset:         40
        .size:           8
        .value_kind:     by_value
      - .offset:         48
        .size:           4
        .value_kind:     by_value
      - .offset:         52
        .size:           4
        .value_kind:     by_value
      - .offset:         56
        .size:           4
        .value_kind:     by_value
      - .offset:         60
        .size:           4
        .value_kind:     by_value
      - .offset:         64
        .size:           4
        .value_kind:     by_value
      - .offset:         68
        .size:           4
        .value_kind:     by_value
      - .offset:         72
        .size:           4
        .value_kind:     by_value
      - .offset:         76
        .size:           4
        .value_kind:     by_value
      - .offset:         80
        .size:           4
        .value_kind:     by_value
      - .offset:         84
        .size:           4
        .value_kind:     by_value
      - .offset:         88
        .size:           4
        .value_kind:     by_value
      - .offset:         92
        .size:           4
        .value_kind:     by_value
      - .offset:         96
        .size:           4
        .value_kind:     by_value
      - .offset:         100
        .size:           4
        .value_kind:     by_value
      - .offset:         104
        .size:           4
        .value_kind:     by_value
      - .address_space:  global
        .offset:         112
        .size:           8
        .value_kind:     global_buffer
      - .offset:         120
        .size:           4
        .value_kind:     hidden_block_count_x
      - .offset:         124
        .size:           4
        .value_kind:     hidden_block_count_y
      - .offset:         128
        .size:           4
        .value_kind:     hidden_block_count_z
      - .offset:         132
        .size:           2
        .value_kind:     hidden_group_size_x
      - .offset:         134
        .size:           2
        .value_kind:     hidden_group_size_y
      - .offset:         136
        .size:           2
        .value_kind:     hidden_group_size_z
      - .offset:         138
        .size:           2
        .value_kind:     hidden_remainder_x
      - .offset:         140
        .size:           2
        .value_kind:     hidden_remainder_y
      - .offset:         142
        .size:           2
        .value_kind:     hidden_remainder_z
      - .offset:         160
        .size:           8
        .value_kind:     hidden_global_offset_x
      - .offset:         168
        .size:           8
        .value_kind:     hidden_global_offset_y
      - .offset:         176
        .size:           8
        .value_kind:     hidden_global_offset_z
      - .offset:         184
        .size:           2
        .value_kind:     hidden_grid_dims
      - .offset:         240
        .size:           4
        .value_kind:     hidden_dynamic_lds_size
    .group_segment_fixed_size: 0
    .kernarg_segment_align: 8
    .kernarg_segment_size: 376
    .language:       OpenCL C
    .language_version:
      - 2
      - 0
    .max_flat_workgroup_size: 256
    .name:           _ZN2at6native12_GLOBAL__N_122max_pool_backward_nhwcIddEEvPKT_PKlillliiiiiiiiiiiiiiiPS3_
    .private_segment_fixed_size: 0
    .sgpr_count:     77
    .sgpr_spill_count: 0
    .symbol:         _ZN2at6native12_GLOBAL__N_122max_pool_backward_nhwcIddEEvPKT_PKlillliiiiiiiiiiiiiiiPS3_.kd
    .uniform_work_group_size: 1
    .uses_dynamic_stack: false
    .vgpr_count:     54
    .vgpr_spill_count: 0
    .wavefront_size: 64
  - .agpr_count:     0
    .args:
      - .address_space:  global
        .offset:         0
        .size:           8
        .value_kind:     global_buffer
      - .address_space:  global
        .offset:         8
        .size:           8
        .value_kind:     global_buffer
      - .offset:         16
        .size:           4
        .value_kind:     by_value
      - .offset:         20
        .size:           4
        .value_kind:     by_value
      - .offset:         24
        .size:           4
        .value_kind:     by_value
      - .offset:         28
        .size:           4
        .value_kind:     by_value
      - .offset:         32
        .size:           4
        .value_kind:     by_value
      - .offset:         36
        .size:           4
        .value_kind:     by_value
      - .offset:         40
        .size:           4
        .value_kind:     by_value
      - .offset:         44
        .size:           4
        .value_kind:     by_value
      - .offset:         48
        .size:           4
        .value_kind:     by_value
      - .offset:         52
        .size:           4
        .value_kind:     by_value
      - .offset:         56
        .size:           4
        .value_kind:     by_value
      - .offset:         60
        .size:           4
        .value_kind:     by_value
      - .offset:         64
        .size:           4
        .value_kind:     by_value
      - .offset:         68
        .size:           4
        .value_kind:     by_value
      - .address_space:  global
        .offset:         72
        .size:           8
        .value_kind:     global_buffer
      - .offset:         80
        .size:           4
        .value_kind:     hidden_block_count_x
      - .offset:         84
        .size:           4
        .value_kind:     hidden_block_count_y
      - .offset:         88
        .size:           4
        .value_kind:     hidden_block_count_z
      - .offset:         92
        .size:           2
        .value_kind:     hidden_group_size_x
      - .offset:         94
        .size:           2
        .value_kind:     hidden_group_size_y
      - .offset:         96
        .size:           2
        .value_kind:     hidden_group_size_z
      - .offset:         98
        .size:           2
        .value_kind:     hidden_remainder_x
      - .offset:         100
        .size:           2
        .value_kind:     hidden_remainder_y
      - .offset:         102
        .size:           2
        .value_kind:     hidden_remainder_z
      - .offset:         120
        .size:           8
        .value_kind:     hidden_global_offset_x
      - .offset:         128
        .size:           8
        .value_kind:     hidden_global_offset_y
      - .offset:         136
        .size:           8
        .value_kind:     hidden_global_offset_z
      - .offset:         144
        .size:           2
        .value_kind:     hidden_grid_dims
    .group_segment_fixed_size: 0
    .kernarg_segment_align: 8
    .kernarg_segment_size: 336
    .language:       OpenCL C
    .language_version:
      - 2
      - 0
    .max_flat_workgroup_size: 256
    .name:           _ZN2at6native12_GLOBAL__N_122max_pool_backward_nchwIddiEEvPKT_PKlT1_S8_S8_S8_S8_S8_iiiiiiiiPS3_
    .private_segment_fixed_size: 0
    .sgpr_count:     68
    .sgpr_spill_count: 0
    .symbol:         _ZN2at6native12_GLOBAL__N_122max_pool_backward_nchwIddiEEvPKT_PKlT1_S8_S8_S8_S8_S8_iiiiiiiiPS3_.kd
    .uniform_work_group_size: 1
    .uses_dynamic_stack: false
    .vgpr_count:     20
    .vgpr_spill_count: 0
    .wavefront_size: 64
  - .agpr_count:     0
    .args:
      - .address_space:  global
        .offset:         0
        .size:           8
        .value_kind:     global_buffer
      - .address_space:  global
        .offset:         8
        .size:           8
        .value_kind:     global_buffer
      - .offset:         16
        .size:           8
        .value_kind:     by_value
      - .offset:         24
        .size:           8
        .value_kind:     by_value
      - .offset:         32
        .size:           8
        .value_kind:     by_value
      - .offset:         40
        .size:           8
        .value_kind:     by_value
      - .offset:         48
        .size:           8
        .value_kind:     by_value
      - .offset:         56
        .size:           8
        .value_kind:     by_value
      - .offset:         64
        .size:           4
        .value_kind:     by_value
      - .offset:         68
        .size:           4
        .value_kind:     by_value
      - .offset:         72
        .size:           4
        .value_kind:     by_value
      - .offset:         76
        .size:           4
        .value_kind:     by_value
      - .offset:         80
        .size:           4
        .value_kind:     by_value
      - .offset:         84
        .size:           4
        .value_kind:     by_value
      - .offset:         88
        .size:           4
        .value_kind:     by_value
      - .offset:         92
        .size:           4
        .value_kind:     by_value
      - .address_space:  global
        .offset:         96
        .size:           8
        .value_kind:     global_buffer
      - .offset:         104
        .size:           4
        .value_kind:     hidden_block_count_x
      - .offset:         108
        .size:           4
        .value_kind:     hidden_block_count_y
      - .offset:         112
        .size:           4
        .value_kind:     hidden_block_count_z
      - .offset:         116
        .size:           2
        .value_kind:     hidden_group_size_x
      - .offset:         118
        .size:           2
        .value_kind:     hidden_group_size_y
      - .offset:         120
        .size:           2
        .value_kind:     hidden_group_size_z
      - .offset:         122
        .size:           2
        .value_kind:     hidden_remainder_x
      - .offset:         124
        .size:           2
        .value_kind:     hidden_remainder_y
      - .offset:         126
        .size:           2
        .value_kind:     hidden_remainder_z
      - .offset:         144
        .size:           8
        .value_kind:     hidden_global_offset_x
      - .offset:         152
        .size:           8
        .value_kind:     hidden_global_offset_y
      - .offset:         160
        .size:           8
        .value_kind:     hidden_global_offset_z
      - .offset:         168
        .size:           2
        .value_kind:     hidden_grid_dims
    .group_segment_fixed_size: 0
    .kernarg_segment_align: 8
    .kernarg_segment_size: 360
    .language:       OpenCL C
    .language_version:
      - 2
      - 0
    .max_flat_workgroup_size: 256
    .name:           _ZN2at6native12_GLOBAL__N_122max_pool_backward_nchwIddlEEvPKT_PKlT1_S8_S8_S8_S8_S8_iiiiiiiiPS3_
    .private_segment_fixed_size: 0
    .sgpr_count:     85
    .sgpr_spill_count: 0
    .symbol:         _ZN2at6native12_GLOBAL__N_122max_pool_backward_nchwIddlEEvPKT_PKlT1_S8_S8_S8_S8_S8_iiiiiiiiPS3_.kd
    .uniform_work_group_size: 1
    .uses_dynamic_stack: false
    .vgpr_count:     40
    .vgpr_spill_count: 0
    .wavefront_size: 64
  - .agpr_count:     0
    .args:
      - .address_space:  global
        .offset:         0
        .size:           8
        .value_kind:     global_buffer
      - .address_space:  global
        .offset:         8
        .size:           8
        .value_kind:     global_buffer
      - .offset:         16
        .size:           4
        .value_kind:     by_value
      - .offset:         24
        .size:           8
        .value_kind:     by_value
      - .offset:         32
        .size:           8
        .value_kind:     by_value
      - .offset:         40
        .size:           8
        .value_kind:     by_value
      - .offset:         48
        .size:           4
        .value_kind:     by_value
      - .offset:         52
        .size:           4
        .value_kind:     by_value
      - .offset:         56
        .size:           4
        .value_kind:     by_value
      - .offset:         60
        .size:           4
        .value_kind:     by_value
      - .offset:         64
        .size:           4
        .value_kind:     by_value
      - .offset:         68
        .size:           4
        .value_kind:     by_value
      - .offset:         72
        .size:           4
        .value_kind:     by_value
      - .offset:         76
        .size:           4
        .value_kind:     by_value
      - .offset:         80
        .size:           4
        .value_kind:     by_value
      - .offset:         84
        .size:           4
        .value_kind:     by_value
      - .offset:         88
        .size:           4
        .value_kind:     by_value
      - .offset:         92
        .size:           4
        .value_kind:     by_value
      - .offset:         96
        .size:           4
        .value_kind:     by_value
      - .offset:         100
        .size:           4
        .value_kind:     by_value
      - .offset:         104
        .size:           4
        .value_kind:     by_value
      - .address_space:  global
        .offset:         112
        .size:           8
        .value_kind:     global_buffer
      - .offset:         120
        .size:           4
        .value_kind:     hidden_block_count_x
      - .offset:         124
        .size:           4
        .value_kind:     hidden_block_count_y
      - .offset:         128
        .size:           4
        .value_kind:     hidden_block_count_z
      - .offset:         132
        .size:           2
        .value_kind:     hidden_group_size_x
      - .offset:         134
        .size:           2
        .value_kind:     hidden_group_size_y
      - .offset:         136
        .size:           2
        .value_kind:     hidden_group_size_z
      - .offset:         138
        .size:           2
        .value_kind:     hidden_remainder_x
      - .offset:         140
        .size:           2
        .value_kind:     hidden_remainder_y
      - .offset:         142
        .size:           2
        .value_kind:     hidden_remainder_z
      - .offset:         160
        .size:           8
        .value_kind:     hidden_global_offset_x
      - .offset:         168
        .size:           8
        .value_kind:     hidden_global_offset_y
      - .offset:         176
        .size:           8
        .value_kind:     hidden_global_offset_z
      - .offset:         184
        .size:           2
        .value_kind:     hidden_grid_dims
      - .offset:         240
        .size:           4
        .value_kind:     hidden_dynamic_lds_size
    .group_segment_fixed_size: 0
    .kernarg_segment_align: 8
    .kernarg_segment_size: 376
    .language:       OpenCL C
    .language_version:
      - 2
      - 0
    .max_flat_workgroup_size: 256
    .name:           _ZN2at6native12_GLOBAL__N_122max_pool_backward_nhwcIffEEvPKT_PKlillliiiiiiiiiiiiiiiPS3_
    .private_segment_fixed_size: 0
    .sgpr_count:     77
    .sgpr_spill_count: 0
    .symbol:         _ZN2at6native12_GLOBAL__N_122max_pool_backward_nhwcIffEEvPKT_PKlillliiiiiiiiiiiiiiiPS3_.kd
    .uniform_work_group_size: 1
    .uses_dynamic_stack: false
    .vgpr_count:     48
    .vgpr_spill_count: 0
    .wavefront_size: 64
  - .agpr_count:     0
    .args:
      - .address_space:  global
        .offset:         0
        .size:           8
        .value_kind:     global_buffer
      - .address_space:  global
        .offset:         8
        .size:           8
        .value_kind:     global_buffer
      - .offset:         16
        .size:           4
        .value_kind:     by_value
      - .offset:         20
        .size:           4
        .value_kind:     by_value
      - .offset:         24
        .size:           4
        .value_kind:     by_value
      - .offset:         28
        .size:           4
        .value_kind:     by_value
      - .offset:         32
        .size:           4
        .value_kind:     by_value
      - .offset:         36
        .size:           4
        .value_kind:     by_value
      - .offset:         40
        .size:           4
        .value_kind:     by_value
      - .offset:         44
        .size:           4
        .value_kind:     by_value
      - .offset:         48
        .size:           4
        .value_kind:     by_value
      - .offset:         52
        .size:           4
        .value_kind:     by_value
      - .offset:         56
        .size:           4
        .value_kind:     by_value
      - .offset:         60
        .size:           4
        .value_kind:     by_value
      - .offset:         64
        .size:           4
        .value_kind:     by_value
      - .offset:         68
        .size:           4
        .value_kind:     by_value
      - .address_space:  global
        .offset:         72
        .size:           8
        .value_kind:     global_buffer
      - .offset:         80
        .size:           4
        .value_kind:     hidden_block_count_x
      - .offset:         84
        .size:           4
        .value_kind:     hidden_block_count_y
      - .offset:         88
        .size:           4
        .value_kind:     hidden_block_count_z
      - .offset:         92
        .size:           2
        .value_kind:     hidden_group_size_x
      - .offset:         94
        .size:           2
        .value_kind:     hidden_group_size_y
      - .offset:         96
        .size:           2
        .value_kind:     hidden_group_size_z
      - .offset:         98
        .size:           2
        .value_kind:     hidden_remainder_x
      - .offset:         100
        .size:           2
        .value_kind:     hidden_remainder_y
      - .offset:         102
        .size:           2
        .value_kind:     hidden_remainder_z
      - .offset:         120
        .size:           8
        .value_kind:     hidden_global_offset_x
      - .offset:         128
        .size:           8
        .value_kind:     hidden_global_offset_y
      - .offset:         136
        .size:           8
        .value_kind:     hidden_global_offset_z
      - .offset:         144
        .size:           2
        .value_kind:     hidden_grid_dims
    .group_segment_fixed_size: 0
    .kernarg_segment_align: 8
    .kernarg_segment_size: 336
    .language:       OpenCL C
    .language_version:
      - 2
      - 0
    .max_flat_workgroup_size: 256
    .name:           _ZN2at6native12_GLOBAL__N_122max_pool_backward_nchwIffiEEvPKT_PKlT1_S8_S8_S8_S8_S8_iiiiiiiiPS3_
    .private_segment_fixed_size: 0
    .sgpr_count:     68
    .sgpr_spill_count: 0
    .symbol:         _ZN2at6native12_GLOBAL__N_122max_pool_backward_nchwIffiEEvPKT_PKlT1_S8_S8_S8_S8_S8_iiiiiiiiPS3_.kd
    .uniform_work_group_size: 1
    .uses_dynamic_stack: false
    .vgpr_count:     20
    .vgpr_spill_count: 0
    .wavefront_size: 64
  - .agpr_count:     0
    .args:
      - .address_space:  global
        .offset:         0
        .size:           8
        .value_kind:     global_buffer
      - .address_space:  global
        .offset:         8
        .size:           8
        .value_kind:     global_buffer
      - .offset:         16
        .size:           8
        .value_kind:     by_value
      - .offset:         24
        .size:           8
        .value_kind:     by_value
      - .offset:         32
        .size:           8
        .value_kind:     by_value
      - .offset:         40
        .size:           8
        .value_kind:     by_value
      - .offset:         48
        .size:           8
        .value_kind:     by_value
      - .offset:         56
        .size:           8
        .value_kind:     by_value
      - .offset:         64
        .size:           4
        .value_kind:     by_value
      - .offset:         68
        .size:           4
        .value_kind:     by_value
      - .offset:         72
        .size:           4
        .value_kind:     by_value
      - .offset:         76
        .size:           4
        .value_kind:     by_value
      - .offset:         80
        .size:           4
        .value_kind:     by_value
      - .offset:         84
        .size:           4
        .value_kind:     by_value
      - .offset:         88
        .size:           4
        .value_kind:     by_value
      - .offset:         92
        .size:           4
        .value_kind:     by_value
      - .address_space:  global
        .offset:         96
        .size:           8
        .value_kind:     global_buffer
      - .offset:         104
        .size:           4
        .value_kind:     hidden_block_count_x
      - .offset:         108
        .size:           4
        .value_kind:     hidden_block_count_y
      - .offset:         112
        .size:           4
        .value_kind:     hidden_block_count_z
      - .offset:         116
        .size:           2
        .value_kind:     hidden_group_size_x
      - .offset:         118
        .size:           2
        .value_kind:     hidden_group_size_y
      - .offset:         120
        .size:           2
        .value_kind:     hidden_group_size_z
      - .offset:         122
        .size:           2
        .value_kind:     hidden_remainder_x
      - .offset:         124
        .size:           2
        .value_kind:     hidden_remainder_y
      - .offset:         126
        .size:           2
        .value_kind:     hidden_remainder_z
      - .offset:         144
        .size:           8
        .value_kind:     hidden_global_offset_x
      - .offset:         152
        .size:           8
        .value_kind:     hidden_global_offset_y
      - .offset:         160
        .size:           8
        .value_kind:     hidden_global_offset_z
      - .offset:         168
        .size:           2
        .value_kind:     hidden_grid_dims
    .group_segment_fixed_size: 0
    .kernarg_segment_align: 8
    .kernarg_segment_size: 360
    .language:       OpenCL C
    .language_version:
      - 2
      - 0
    .max_flat_workgroup_size: 256
    .name:           _ZN2at6native12_GLOBAL__N_122max_pool_backward_nchwIfflEEvPKT_PKlT1_S8_S8_S8_S8_S8_iiiiiiiiPS3_
    .private_segment_fixed_size: 0
    .sgpr_count:     95
    .sgpr_spill_count: 0
    .symbol:         _ZN2at6native12_GLOBAL__N_122max_pool_backward_nchwIfflEEvPKT_PKlT1_S8_S8_S8_S8_S8_iiiiiiiiPS3_.kd
    .uniform_work_group_size: 1
    .uses_dynamic_stack: false
    .vgpr_count:     38
    .vgpr_spill_count: 0
    .wavefront_size: 64
  - .agpr_count:     0
    .args:
      - .address_space:  global
        .offset:         0
        .size:           8
        .value_kind:     global_buffer
      - .address_space:  global
        .offset:         8
        .size:           8
        .value_kind:     global_buffer
      - .offset:         16
        .size:           4
        .value_kind:     by_value
      - .offset:         24
        .size:           8
        .value_kind:     by_value
      - .offset:         32
        .size:           8
        .value_kind:     by_value
      - .offset:         40
        .size:           8
        .value_kind:     by_value
      - .offset:         48
        .size:           4
        .value_kind:     by_value
      - .offset:         52
        .size:           4
        .value_kind:     by_value
      - .offset:         56
        .size:           4
        .value_kind:     by_value
      - .offset:         60
        .size:           4
        .value_kind:     by_value
      - .offset:         64
        .size:           4
        .value_kind:     by_value
      - .offset:         68
        .size:           4
        .value_kind:     by_value
      - .offset:         72
        .size:           4
        .value_kind:     by_value
      - .offset:         76
        .size:           4
        .value_kind:     by_value
      - .offset:         80
        .size:           4
        .value_kind:     by_value
      - .offset:         84
        .size:           4
        .value_kind:     by_value
      - .offset:         88
        .size:           4
        .value_kind:     by_value
      - .offset:         92
        .size:           4
        .value_kind:     by_value
      - .offset:         96
        .size:           4
        .value_kind:     by_value
      - .offset:         100
        .size:           4
        .value_kind:     by_value
      - .offset:         104
        .size:           4
        .value_kind:     by_value
      - .address_space:  global
        .offset:         112
        .size:           8
        .value_kind:     global_buffer
      - .offset:         120
        .size:           4
        .value_kind:     hidden_block_count_x
      - .offset:         124
        .size:           4
        .value_kind:     hidden_block_count_y
      - .offset:         128
        .size:           4
        .value_kind:     hidden_block_count_z
      - .offset:         132
        .size:           2
        .value_kind:     hidden_group_size_x
      - .offset:         134
        .size:           2
        .value_kind:     hidden_group_size_y
      - .offset:         136
        .size:           2
        .value_kind:     hidden_group_size_z
      - .offset:         138
        .size:           2
        .value_kind:     hidden_remainder_x
      - .offset:         140
        .size:           2
        .value_kind:     hidden_remainder_y
      - .offset:         142
        .size:           2
        .value_kind:     hidden_remainder_z
      - .offset:         160
        .size:           8
        .value_kind:     hidden_global_offset_x
      - .offset:         168
        .size:           8
        .value_kind:     hidden_global_offset_y
      - .offset:         176
        .size:           8
        .value_kind:     hidden_global_offset_z
      - .offset:         184
        .size:           2
        .value_kind:     hidden_grid_dims
      - .offset:         240
        .size:           4
        .value_kind:     hidden_dynamic_lds_size
    .group_segment_fixed_size: 0
    .kernarg_segment_align: 8
    .kernarg_segment_size: 376
    .language:       OpenCL C
    .language_version:
      - 2
      - 0
    .max_flat_workgroup_size: 256
    .name:           _ZN2at6native12_GLOBAL__N_122max_pool_backward_nhwcIN3c104HalfEfEEvPKT_PKlillliiiiiiiiiiiiiiiPS5_
    .private_segment_fixed_size: 0
    .sgpr_count:     77
    .sgpr_spill_count: 0
    .symbol:         _ZN2at6native12_GLOBAL__N_122max_pool_backward_nhwcIN3c104HalfEfEEvPKT_PKlillliiiiiiiiiiiiiiiPS5_.kd
    .uniform_work_group_size: 1
    .uses_dynamic_stack: false
    .vgpr_count:     48
    .vgpr_spill_count: 0
    .wavefront_size: 64
  - .agpr_count:     0
    .args:
      - .address_space:  global
        .offset:         0
        .size:           8
        .value_kind:     global_buffer
      - .address_space:  global
        .offset:         8
        .size:           8
        .value_kind:     global_buffer
      - .offset:         16
        .size:           4
        .value_kind:     by_value
      - .offset:         20
        .size:           4
        .value_kind:     by_value
      - .offset:         24
        .size:           4
        .value_kind:     by_value
      - .offset:         28
        .size:           4
        .value_kind:     by_value
      - .offset:         32
        .size:           4
        .value_kind:     by_value
      - .offset:         36
        .size:           4
        .value_kind:     by_value
      - .offset:         40
        .size:           4
        .value_kind:     by_value
      - .offset:         44
        .size:           4
        .value_kind:     by_value
      - .offset:         48
        .size:           4
        .value_kind:     by_value
      - .offset:         52
        .size:           4
        .value_kind:     by_value
      - .offset:         56
        .size:           4
        .value_kind:     by_value
      - .offset:         60
        .size:           4
        .value_kind:     by_value
      - .offset:         64
        .size:           4
        .value_kind:     by_value
      - .offset:         68
        .size:           4
        .value_kind:     by_value
      - .address_space:  global
        .offset:         72
        .size:           8
        .value_kind:     global_buffer
      - .offset:         80
        .size:           4
        .value_kind:     hidden_block_count_x
      - .offset:         84
        .size:           4
        .value_kind:     hidden_block_count_y
      - .offset:         88
        .size:           4
        .value_kind:     hidden_block_count_z
      - .offset:         92
        .size:           2
        .value_kind:     hidden_group_size_x
      - .offset:         94
        .size:           2
        .value_kind:     hidden_group_size_y
      - .offset:         96
        .size:           2
        .value_kind:     hidden_group_size_z
      - .offset:         98
        .size:           2
        .value_kind:     hidden_remainder_x
      - .offset:         100
        .size:           2
        .value_kind:     hidden_remainder_y
      - .offset:         102
        .size:           2
        .value_kind:     hidden_remainder_z
      - .offset:         120
        .size:           8
        .value_kind:     hidden_global_offset_x
      - .offset:         128
        .size:           8
        .value_kind:     hidden_global_offset_y
      - .offset:         136
        .size:           8
        .value_kind:     hidden_global_offset_z
      - .offset:         144
        .size:           2
        .value_kind:     hidden_grid_dims
    .group_segment_fixed_size: 0
    .kernarg_segment_align: 8
    .kernarg_segment_size: 336
    .language:       OpenCL C
    .language_version:
      - 2
      - 0
    .max_flat_workgroup_size: 256
    .name:           _ZN2at6native12_GLOBAL__N_122max_pool_backward_nchwIN3c104HalfEfiEEvPKT_PKlT1_SA_SA_SA_SA_SA_iiiiiiiiPS5_
    .private_segment_fixed_size: 0
    .sgpr_count:     68
    .sgpr_spill_count: 0
    .symbol:         _ZN2at6native12_GLOBAL__N_122max_pool_backward_nchwIN3c104HalfEfiEEvPKT_PKlT1_SA_SA_SA_SA_SA_iiiiiiiiPS5_.kd
    .uniform_work_group_size: 1
    .uses_dynamic_stack: false
    .vgpr_count:     20
    .vgpr_spill_count: 0
    .wavefront_size: 64
  - .agpr_count:     0
    .args:
      - .address_space:  global
        .offset:         0
        .size:           8
        .value_kind:     global_buffer
      - .address_space:  global
        .offset:         8
        .size:           8
        .value_kind:     global_buffer
      - .offset:         16
        .size:           8
        .value_kind:     by_value
      - .offset:         24
        .size:           8
        .value_kind:     by_value
      - .offset:         32
        .size:           8
        .value_kind:     by_value
      - .offset:         40
        .size:           8
        .value_kind:     by_value
      - .offset:         48
        .size:           8
        .value_kind:     by_value
      - .offset:         56
        .size:           8
        .value_kind:     by_value
      - .offset:         64
        .size:           4
        .value_kind:     by_value
      - .offset:         68
        .size:           4
        .value_kind:     by_value
      - .offset:         72
        .size:           4
        .value_kind:     by_value
      - .offset:         76
        .size:           4
        .value_kind:     by_value
      - .offset:         80
        .size:           4
        .value_kind:     by_value
      - .offset:         84
        .size:           4
        .value_kind:     by_value
      - .offset:         88
        .size:           4
        .value_kind:     by_value
      - .offset:         92
        .size:           4
        .value_kind:     by_value
      - .address_space:  global
        .offset:         96
        .size:           8
        .value_kind:     global_buffer
      - .offset:         104
        .size:           4
        .value_kind:     hidden_block_count_x
      - .offset:         108
        .size:           4
        .value_kind:     hidden_block_count_y
      - .offset:         112
        .size:           4
        .value_kind:     hidden_block_count_z
      - .offset:         116
        .size:           2
        .value_kind:     hidden_group_size_x
      - .offset:         118
        .size:           2
        .value_kind:     hidden_group_size_y
      - .offset:         120
        .size:           2
        .value_kind:     hidden_group_size_z
      - .offset:         122
        .size:           2
        .value_kind:     hidden_remainder_x
      - .offset:         124
        .size:           2
        .value_kind:     hidden_remainder_y
      - .offset:         126
        .size:           2
        .value_kind:     hidden_remainder_z
      - .offset:         144
        .size:           8
        .value_kind:     hidden_global_offset_x
      - .offset:         152
        .size:           8
        .value_kind:     hidden_global_offset_y
      - .offset:         160
        .size:           8
        .value_kind:     hidden_global_offset_z
      - .offset:         168
        .size:           2
        .value_kind:     hidden_grid_dims
    .group_segment_fixed_size: 0
    .kernarg_segment_align: 8
    .kernarg_segment_size: 360
    .language:       OpenCL C
    .language_version:
      - 2
      - 0
    .max_flat_workgroup_size: 256
    .name:           _ZN2at6native12_GLOBAL__N_122max_pool_backward_nchwIN3c104HalfEflEEvPKT_PKlT1_SA_SA_SA_SA_SA_iiiiiiiiPS5_
    .private_segment_fixed_size: 0
    .sgpr_count:     95
    .sgpr_spill_count: 0
    .symbol:         _ZN2at6native12_GLOBAL__N_122max_pool_backward_nchwIN3c104HalfEflEEvPKT_PKlT1_SA_SA_SA_SA_SA_iiiiiiiiPS5_.kd
    .uniform_work_group_size: 1
    .uses_dynamic_stack: false
    .vgpr_count:     38
    .vgpr_spill_count: 0
    .wavefront_size: 64
  - .agpr_count:     0
    .args:
      - .address_space:  global
        .offset:         0
        .size:           8
        .value_kind:     global_buffer
      - .address_space:  global
        .offset:         8
        .size:           8
        .value_kind:     global_buffer
      - .offset:         16
        .size:           4
        .value_kind:     by_value
      - .offset:         24
        .size:           8
        .value_kind:     by_value
      - .offset:         32
        .size:           8
        .value_kind:     by_value
      - .offset:         40
        .size:           8
        .value_kind:     by_value
      - .offset:         48
        .size:           4
        .value_kind:     by_value
      - .offset:         52
        .size:           4
        .value_kind:     by_value
      - .offset:         56
        .size:           4
        .value_kind:     by_value
      - .offset:         60
        .size:           4
        .value_kind:     by_value
      - .offset:         64
        .size:           4
        .value_kind:     by_value
      - .offset:         68
        .size:           4
        .value_kind:     by_value
      - .offset:         72
        .size:           4
        .value_kind:     by_value
      - .offset:         76
        .size:           4
        .value_kind:     by_value
      - .offset:         80
        .size:           4
        .value_kind:     by_value
      - .offset:         84
        .size:           4
        .value_kind:     by_value
      - .offset:         88
        .size:           4
        .value_kind:     by_value
      - .offset:         92
        .size:           4
        .value_kind:     by_value
      - .offset:         96
        .size:           4
        .value_kind:     by_value
      - .offset:         100
        .size:           4
        .value_kind:     by_value
      - .offset:         104
        .size:           4
        .value_kind:     by_value
      - .address_space:  global
        .offset:         112
        .size:           8
        .value_kind:     global_buffer
      - .offset:         120
        .size:           4
        .value_kind:     hidden_block_count_x
      - .offset:         124
        .size:           4
        .value_kind:     hidden_block_count_y
      - .offset:         128
        .size:           4
        .value_kind:     hidden_block_count_z
      - .offset:         132
        .size:           2
        .value_kind:     hidden_group_size_x
      - .offset:         134
        .size:           2
        .value_kind:     hidden_group_size_y
      - .offset:         136
        .size:           2
        .value_kind:     hidden_group_size_z
      - .offset:         138
        .size:           2
        .value_kind:     hidden_remainder_x
      - .offset:         140
        .size:           2
        .value_kind:     hidden_remainder_y
      - .offset:         142
        .size:           2
        .value_kind:     hidden_remainder_z
      - .offset:         160
        .size:           8
        .value_kind:     hidden_global_offset_x
      - .offset:         168
        .size:           8
        .value_kind:     hidden_global_offset_y
      - .offset:         176
        .size:           8
        .value_kind:     hidden_global_offset_z
      - .offset:         184
        .size:           2
        .value_kind:     hidden_grid_dims
      - .offset:         240
        .size:           4
        .value_kind:     hidden_dynamic_lds_size
    .group_segment_fixed_size: 0
    .kernarg_segment_align: 8
    .kernarg_segment_size: 376
    .language:       OpenCL C
    .language_version:
      - 2
      - 0
    .max_flat_workgroup_size: 256
    .name:           _ZN2at6native12_GLOBAL__N_122max_pool_backward_nhwcIN3c108BFloat16EfEEvPKT_PKlillliiiiiiiiiiiiiiiPS5_
    .private_segment_fixed_size: 0
    .sgpr_count:     80
    .sgpr_spill_count: 0
    .symbol:         _ZN2at6native12_GLOBAL__N_122max_pool_backward_nhwcIN3c108BFloat16EfEEvPKT_PKlillliiiiiiiiiiiiiiiPS5_.kd
    .uniform_work_group_size: 1
    .uses_dynamic_stack: false
    .vgpr_count:     48
    .vgpr_spill_count: 0
    .wavefront_size: 64
  - .agpr_count:     0
    .args:
      - .address_space:  global
        .offset:         0
        .size:           8
        .value_kind:     global_buffer
      - .address_space:  global
        .offset:         8
        .size:           8
        .value_kind:     global_buffer
      - .offset:         16
        .size:           4
        .value_kind:     by_value
      - .offset:         20
        .size:           4
        .value_kind:     by_value
      - .offset:         24
        .size:           4
        .value_kind:     by_value
      - .offset:         28
        .size:           4
        .value_kind:     by_value
      - .offset:         32
        .size:           4
        .value_kind:     by_value
      - .offset:         36
        .size:           4
        .value_kind:     by_value
      - .offset:         40
        .size:           4
        .value_kind:     by_value
      - .offset:         44
        .size:           4
        .value_kind:     by_value
      - .offset:         48
        .size:           4
        .value_kind:     by_value
      - .offset:         52
        .size:           4
        .value_kind:     by_value
      - .offset:         56
        .size:           4
        .value_kind:     by_value
      - .offset:         60
        .size:           4
        .value_kind:     by_value
      - .offset:         64
        .size:           4
        .value_kind:     by_value
      - .offset:         68
        .size:           4
        .value_kind:     by_value
      - .address_space:  global
        .offset:         72
        .size:           8
        .value_kind:     global_buffer
      - .offset:         80
        .size:           4
        .value_kind:     hidden_block_count_x
      - .offset:         84
        .size:           4
        .value_kind:     hidden_block_count_y
      - .offset:         88
        .size:           4
        .value_kind:     hidden_block_count_z
      - .offset:         92
        .size:           2
        .value_kind:     hidden_group_size_x
      - .offset:         94
        .size:           2
        .value_kind:     hidden_group_size_y
      - .offset:         96
        .size:           2
        .value_kind:     hidden_group_size_z
      - .offset:         98
        .size:           2
        .value_kind:     hidden_remainder_x
      - .offset:         100
        .size:           2
        .value_kind:     hidden_remainder_y
      - .offset:         102
        .size:           2
        .value_kind:     hidden_remainder_z
      - .offset:         120
        .size:           8
        .value_kind:     hidden_global_offset_x
      - .offset:         128
        .size:           8
        .value_kind:     hidden_global_offset_y
      - .offset:         136
        .size:           8
        .value_kind:     hidden_global_offset_z
      - .offset:         144
        .size:           2
        .value_kind:     hidden_grid_dims
    .group_segment_fixed_size: 0
    .kernarg_segment_align: 8
    .kernarg_segment_size: 336
    .language:       OpenCL C
    .language_version:
      - 2
      - 0
    .max_flat_workgroup_size: 256
    .name:           _ZN2at6native12_GLOBAL__N_122max_pool_backward_nchwIN3c108BFloat16EfiEEvPKT_PKlT1_SA_SA_SA_SA_SA_iiiiiiiiPS5_
    .private_segment_fixed_size: 0
    .sgpr_count:     69
    .sgpr_spill_count: 0
    .symbol:         _ZN2at6native12_GLOBAL__N_122max_pool_backward_nchwIN3c108BFloat16EfiEEvPKT_PKlT1_SA_SA_SA_SA_SA_iiiiiiiiPS5_.kd
    .uniform_work_group_size: 1
    .uses_dynamic_stack: false
    .vgpr_count:     20
    .vgpr_spill_count: 0
    .wavefront_size: 64
  - .agpr_count:     0
    .args:
      - .address_space:  global
        .offset:         0
        .size:           8
        .value_kind:     global_buffer
      - .address_space:  global
        .offset:         8
        .size:           8
        .value_kind:     global_buffer
      - .offset:         16
        .size:           8
        .value_kind:     by_value
      - .offset:         24
        .size:           8
        .value_kind:     by_value
      - .offset:         32
        .size:           8
        .value_kind:     by_value
      - .offset:         40
        .size:           8
        .value_kind:     by_value
      - .offset:         48
        .size:           8
        .value_kind:     by_value
      - .offset:         56
        .size:           8
        .value_kind:     by_value
      - .offset:         64
        .size:           4
        .value_kind:     by_value
      - .offset:         68
        .size:           4
        .value_kind:     by_value
      - .offset:         72
        .size:           4
        .value_kind:     by_value
      - .offset:         76
        .size:           4
        .value_kind:     by_value
      - .offset:         80
        .size:           4
        .value_kind:     by_value
      - .offset:         84
        .size:           4
        .value_kind:     by_value
      - .offset:         88
        .size:           4
        .value_kind:     by_value
      - .offset:         92
        .size:           4
        .value_kind:     by_value
      - .address_space:  global
        .offset:         96
        .size:           8
        .value_kind:     global_buffer
      - .offset:         104
        .size:           4
        .value_kind:     hidden_block_count_x
      - .offset:         108
        .size:           4
        .value_kind:     hidden_block_count_y
      - .offset:         112
        .size:           4
        .value_kind:     hidden_block_count_z
      - .offset:         116
        .size:           2
        .value_kind:     hidden_group_size_x
      - .offset:         118
        .size:           2
        .value_kind:     hidden_group_size_y
      - .offset:         120
        .size:           2
        .value_kind:     hidden_group_size_z
      - .offset:         122
        .size:           2
        .value_kind:     hidden_remainder_x
      - .offset:         124
        .size:           2
        .value_kind:     hidden_remainder_y
      - .offset:         126
        .size:           2
        .value_kind:     hidden_remainder_z
      - .offset:         144
        .size:           8
        .value_kind:     hidden_global_offset_x
      - .offset:         152
        .size:           8
        .value_kind:     hidden_global_offset_y
      - .offset:         160
        .size:           8
        .value_kind:     hidden_global_offset_z
      - .offset:         168
        .size:           2
        .value_kind:     hidden_grid_dims
    .group_segment_fixed_size: 0
    .kernarg_segment_align: 8
    .kernarg_segment_size: 360
    .language:       OpenCL C
    .language_version:
      - 2
      - 0
    .max_flat_workgroup_size: 256
    .name:           _ZN2at6native12_GLOBAL__N_122max_pool_backward_nchwIN3c108BFloat16EflEEvPKT_PKlT1_SA_SA_SA_SA_SA_iiiiiiiiPS5_
    .private_segment_fixed_size: 0
    .sgpr_count:     96
    .sgpr_spill_count: 0
    .symbol:         _ZN2at6native12_GLOBAL__N_122max_pool_backward_nchwIN3c108BFloat16EflEEvPKT_PKlT1_SA_SA_SA_SA_SA_iiiiiiiiPS5_.kd
    .uniform_work_group_size: 1
    .uses_dynamic_stack: false
    .vgpr_count:     38
    .vgpr_spill_count: 0
    .wavefront_size: 64
amdhsa.target:   amdgcn-amd-amdhsa--gfx950
amdhsa.version:
  - 1
  - 2
...

	.end_amdgpu_metadata
